;; amdgpu-corpus repo=ROCm/rocFFT kind=compiled arch=gfx950 opt=O3
	.text
	.amdgcn_target "amdgcn-amd-amdhsa--gfx950"
	.amdhsa_code_object_version 6
	.protected	bluestein_single_back_len11200_dim1_half_op_CI_CI ; -- Begin function bluestein_single_back_len11200_dim1_half_op_CI_CI
	.globl	bluestein_single_back_len11200_dim1_half_op_CI_CI
	.p2align	8
	.type	bluestein_single_back_len11200_dim1_half_op_CI_CI,@function
bluestein_single_back_len11200_dim1_half_op_CI_CI: ; @bluestein_single_back_len11200_dim1_half_op_CI_CI
; %bb.0:
	s_load_dwordx4 s[12:15], s[0:1], 0x28
	v_mul_u32_u24_e32 v1, 0x125, v0
	v_lshrrev_b32_e32 v1, 17, v1
	v_mov_b32_e32 v85, 0
	v_add_u32_e32 v86, s2, v1
	v_mov_b32_e32 v87, v85
	s_waitcnt lgkmcnt(0)
	v_cmp_gt_u64_e32 vcc, s[12:13], v[86:87]
	s_and_saveexec_b64 s[2:3], vcc
	s_cbranch_execz .LBB0_31
; %bb.1:
	s_load_dwordx4 s[4:7], s[0:1], 0x18
	s_load_dwordx2 s[16:17], s[0:1], 0x0
	v_mul_lo_u16_e32 v1, 0x1c0, v1
	v_sub_u16_e32 v84, v0, v1
	v_mov_b32_e32 v2, s14
	s_waitcnt lgkmcnt(0)
	s_load_dwordx4 s[8:11], s[4:5], 0x0
	v_mov_b32_e32 v3, s15
	v_lshlrev_b32_e32 v82, 2, v84
	v_mov_b32_e32 v83, v85
	v_lshl_add_u64 v[80:81], s[16:17], 0, v[82:83]
	s_waitcnt lgkmcnt(0)
	v_mad_u64_u32 v[0:1], s[2:3], s10, v86, 0
	v_mov_b32_e32 v4, v1
	v_mad_u64_u32 v[4:5], s[2:3], s11, v86, v[4:5]
	v_mov_b32_e32 v1, v4
	;; [unrolled: 2-line block ×3, first 2 shown]
	v_mad_u64_u32 v[6:7], s[2:3], s9, v84, v[6:7]
	s_mul_i32 s2, s9, 0xaf0
	s_mul_hi_u32 s3, s8, 0xaf0
	v_mov_b32_e32 v5, v6
	v_lshl_add_u64 v[0:1], v[0:1], 2, v[2:3]
	s_add_i32 s3, s3, s2
	s_mul_i32 s2, s8, 0xaf0
	s_movk_i32 s4, 0x2000
	v_lshl_add_u64 v[0:1], v[4:5], 2, v[0:1]
	global_load_dword v133, v82, s[16:17]
	s_lshl_b64 s[2:3], s[2:3], 2
	v_add_co_u32_e32 v4, vcc, s4, v80
	v_lshl_add_u64 v[2:3], v[0:1], 0, s[2:3]
	global_load_dword v12, v[0:1], off
	global_load_dword v13, v[2:3], off
	v_addc_co_u32_e32 v5, vcc, 0, v81, vcc
	global_load_dword v132, v[4:5], off offset:3008
	s_movk_i32 s4, 0x5000
	v_lshl_add_u64 v[2:3], v[2:3], 0, s[2:3]
	v_add_co_u32_e32 v0, vcc, s4, v80
	global_load_dword v14, v[2:3], off
	s_nop 0
	v_addc_co_u32_e32 v1, vcc, 0, v81, vcc
	global_load_dword v131, v[0:1], off offset:1920
	s_mov_b32 s4, 0x8000
	v_lshl_add_u64 v[6:7], v[2:3], 0, s[2:3]
	v_add_co_u32_e32 v2, vcc, s4, v80
	global_load_dword v15, v[6:7], off
	s_nop 0
	v_addc_co_u32_e32 v3, vcc, 0, v81, vcc
	global_load_dword v130, v[2:3], off offset:832
	s_mul_hi_u32 s5, s8, 0xffffe0f0
	s_mul_i32 s4, s9, 0xffffe0f0
	s_sub_i32 s5, s5, s8
	s_add_i32 s5, s5, s4
	s_mul_i32 s4, s8, 0xffffe0f0
	s_lshl_b64 s[14:15], s[4:5], 2
	v_lshl_add_u64 v[6:7], v[6:7], 0, s[14:15]
	global_load_dword v16, v[6:7], off
	global_load_dword v129, v82, s[16:17] offset:1792
	s_movk_i32 s8, 0x3000
	v_lshl_add_u64 v[8:9], v[6:7], 0, s[2:3]
	v_add_co_u32_e32 v6, vcc, s8, v80
	global_load_dword v17, v[8:9], off
	s_nop 0
	v_addc_co_u32_e32 v7, vcc, 0, v81, vcc
	global_load_dword v127, v[6:7], off offset:704
	v_lshl_add_u64 v[8:9], v[8:9], 0, s[2:3]
	global_load_dword v18, v[8:9], off
	global_load_dword v126, v[0:1], off offset:3712
	s_load_dwordx2 s[12:13], s[0:1], 0x38
	s_load_dwordx4 s[8:11], s[6:7], 0x0
	global_load_dword v123, v82, s[16:17] offset:3584
	global_load_dword v128, v[2:3], off offset:2624
	global_load_dword v83, v[4:5], off offset:768
	v_lshl_add_u64 v[4:5], v[8:9], 0, s[2:3]
	global_load_dword v19, v[4:5], off
	v_add_co_u32_e32 v10, vcc, 0xa000, v80
	v_lshl_add_u64 v[4:5], v[4:5], 0, s[14:15]
	s_nop 0
	v_addc_co_u32_e32 v11, vcc, 0, v81, vcc
	global_load_dword v75, v[10:11], off offset:1600
	global_load_dword v125, v[6:7], off offset:2496
	global_load_dword v20, v[4:5], off
	v_lshl_add_u64 v[4:5], v[4:5], 0, s[2:3]
	s_movk_i32 s6, 0x6000
	s_waitcnt vmcnt(19)
	v_lshrrev_b32_e32 v8, 16, v12
	v_mul_f16_sdwa v9, v133, v12 dst_sel:DWORD dst_unused:UNUSED_PAD src0_sel:WORD_1 src1_sel:DWORD
	v_mul_f16_sdwa v10, v133, v8 dst_sel:DWORD dst_unused:UNUSED_PAD src0_sel:WORD_1 src1_sel:DWORD
	v_fma_f16 v8, v133, v8, -v9
	s_waitcnt vmcnt(18)
	v_lshrrev_b32_e32 v9, 16, v13
	s_waitcnt vmcnt(17)
	v_mul_f16_sdwa v11, v132, v13 dst_sel:DWORD dst_unused:UNUSED_PAD src0_sel:WORD_1 src1_sel:DWORD
	v_fma_f16 v10, v133, v12, v10
	v_mul_f16_sdwa v12, v132, v9 dst_sel:DWORD dst_unused:UNUSED_PAD src0_sel:WORD_1 src1_sel:DWORD
	v_fma_f16 v9, v132, v9, -v11
	v_pack_b32_f16 v8, v10, v8
	v_fma_f16 v10, v132, v13, v12
	s_waitcnt vmcnt(16)
	v_lshrrev_b32_e32 v11, 16, v14
	v_pack_b32_f16 v9, v10, v9
	ds_write_b32 v82, v9 offset:11200
	s_waitcnt vmcnt(15)
	v_mul_f16_sdwa v9, v131, v11 dst_sel:DWORD dst_unused:UNUSED_PAD src0_sel:WORD_1 src1_sel:DWORD
	v_fma_f16 v9, v131, v14, v9
	v_mul_f16_sdwa v10, v131, v14 dst_sel:DWORD dst_unused:UNUSED_PAD src0_sel:WORD_1 src1_sel:DWORD
	global_load_dword v14, v[4:5], off
	v_fma_f16 v10, v131, v11, -v10
	v_pack_b32_f16 v9, v9, v10
	ds_write_b32 v82, v9 offset:22400
	s_waitcnt vmcnt(15)
	v_lshrrev_b32_e32 v9, 16, v15
	s_waitcnt vmcnt(14)
	v_mul_f16_sdwa v10, v130, v9 dst_sel:DWORD dst_unused:UNUSED_PAD src0_sel:WORD_1 src1_sel:DWORD
	v_mul_f16_sdwa v11, v130, v15 dst_sel:DWORD dst_unused:UNUSED_PAD src0_sel:WORD_1 src1_sel:DWORD
	v_fma_f16 v10, v130, v15, v10
	v_fma_f16 v9, v130, v9, -v11
	v_pack_b32_f16 v9, v10, v9
	ds_write_b32 v82, v9 offset:33600
	s_waitcnt vmcnt(13)
	v_lshrrev_b32_e32 v9, 16, v16
	s_waitcnt vmcnt(12)
	v_mul_f16_sdwa v10, v129, v9 dst_sel:DWORD dst_unused:UNUSED_PAD src0_sel:WORD_1 src1_sel:DWORD
	v_mul_f16_sdwa v11, v129, v16 dst_sel:DWORD dst_unused:UNUSED_PAD src0_sel:WORD_1 src1_sel:DWORD
	v_fma_f16 v10, v129, v16, v10
	v_fma_f16 v9, v129, v9, -v11
	v_pack_b32_f16 v9, v10, v9
	ds_write2st64_b32 v82, v8, v9 offset1:7
	s_waitcnt vmcnt(11)
	v_lshrrev_b32_e32 v8, 16, v17
	s_waitcnt vmcnt(10)
	v_mul_f16_sdwa v6, v127, v8 dst_sel:DWORD dst_unused:UNUSED_PAD src0_sel:WORD_1 src1_sel:DWORD
	v_fma_f16 v9, v127, v17, v6
	v_lshl_add_u64 v[4:5], v[4:5], 0, s[2:3]
	v_add_co_u32_e32 v6, vcc, s6, v80
	global_load_dword v15, v[4:5], off
	s_nop 0
	v_addc_co_u32_e32 v7, vcc, 0, v81, vcc
	v_mul_f16_sdwa v10, v127, v17 dst_sel:DWORD dst_unused:UNUSED_PAD src0_sel:WORD_1 src1_sel:DWORD
	global_load_dword v124, v[6:7], off offset:1408
	v_fma_f16 v8, v127, v8, -v10
	s_waitcnt vmcnt(11)
	v_lshrrev_b32_e32 v17, 16, v18
	v_pack_b32_f16 v16, v9, v8
	s_waitcnt vmcnt(10)
	v_mul_f16_sdwa v8, v126, v17 dst_sel:DWORD dst_unused:UNUSED_PAD src0_sel:WORD_1 src1_sel:DWORD
	s_mov_b32 s6, 0x9000
	v_fma_f16 v21, v126, v18, v8
	v_lshl_add_u64 v[4:5], v[4:5], 0, s[2:3]
	v_add_co_u32_e32 v8, vcc, s6, v80
	global_load_dword v22, v[4:5], off
	s_nop 0
	v_addc_co_u32_e32 v9, vcc, 0, v81, vcc
	global_load_dword v122, v[8:9], off offset:320
	s_movk_i32 s6, 0x1000
	v_lshl_add_u64 v[4:5], v[4:5], 0, s[14:15]
	v_add_co_u32_e32 v10, vcc, s6, v80
	global_load_dword v23, v[4:5], off
	s_nop 0
	v_addc_co_u32_e32 v11, vcc, 0, v81, vcc
	global_load_dword v121, v[10:11], off offset:1280
	s_movk_i32 s6, 0x4000
	v_lshl_add_u64 v[4:5], v[4:5], 0, s[2:3]
	v_add_co_u32_e32 v12, vcc, s6, v80
	global_load_dword v24, v[4:5], off
	s_nop 0
	v_addc_co_u32_e32 v13, vcc, 0, v81, vcc
	global_load_dword v120, v[12:13], off offset:192
	v_mul_f16_sdwa v18, v126, v18 dst_sel:DWORD dst_unused:UNUSED_PAD src0_sel:WORD_1 src1_sel:DWORD
	v_fma_f16 v17, v126, v17, -v18
	v_lshl_add_u64 v[4:5], v[4:5], 0, s[2:3]
	v_pack_b32_f16 v17, v21, v17
	global_load_dword v21, v[4:5], off
	global_load_dword v119, v[6:7], off offset:3200
	s_waitcnt vmcnt(14)
	v_lshrrev_b32_e32 v18, 16, v19
	v_mul_f16_sdwa v6, v128, v18 dst_sel:DWORD dst_unused:UNUSED_PAD src0_sel:WORD_1 src1_sel:DWORD
	v_lshl_add_u64 v[4:5], v[4:5], 0, s[2:3]
	v_fma_f16 v6, v128, v19, v6
	v_mul_f16_sdwa v7, v128, v19 dst_sel:DWORD dst_unused:UNUSED_PAD src0_sel:WORD_1 src1_sel:DWORD
	global_load_dword v19, v[4:5], off
	global_load_dword v118, v[8:9], off offset:2112
	v_lshl_add_u64 v[4:5], v[4:5], 0, s[14:15]
	global_load_dword v25, v[4:5], off
	global_load_dword v117, v[10:11], off offset:3072
	v_lshl_add_u64 v[4:5], v[4:5], 0, s[2:3]
	global_load_dword v26, v[4:5], off
	global_load_dword v116, v[12:13], off offset:1984
	s_movk_i32 s6, 0x7000
	v_lshl_add_u64 v[4:5], v[4:5], 0, s[2:3]
	v_add_co_u32_e32 v10, vcc, s6, v80
	global_load_dword v27, v[4:5], off
	s_nop 0
	v_addc_co_u32_e32 v11, vcc, 0, v81, vcc
	global_load_dword v115, v[10:11], off offset:896
	v_fma_f16 v7, v128, v18, -v7
	v_pack_b32_f16 v18, v6, v7
	s_waitcnt vmcnt(19)
	v_lshrrev_b32_e32 v6, 16, v20
	v_mul_f16_sdwa v7, v123, v6 dst_sel:DWORD dst_unused:UNUSED_PAD src0_sel:WORD_1 src1_sel:DWORD
	v_lshl_add_u64 v[4:5], v[4:5], 0, s[2:3]
	v_fma_f16 v7, v123, v20, v7
	v_mul_f16_sdwa v20, v123, v20 dst_sel:DWORD dst_unused:UNUSED_PAD src0_sel:WORD_1 src1_sel:DWORD
	global_load_dword v28, v[4:5], off
	global_load_dword v114, v[8:9], off offset:3904
	v_fma_f16 v6, v123, v6, -v20
	v_pack_b32_f16 v20, v7, v6
	s_waitcnt vmcnt(20)
	v_lshrrev_b32_e32 v6, 16, v14
	v_mul_f16_sdwa v8, v125, v14 dst_sel:DWORD dst_unused:UNUSED_PAD src0_sel:WORD_1 src1_sel:DWORD
	v_lshl_add_u64 v[4:5], v[4:5], 0, s[14:15]
	v_mul_f16_sdwa v7, v125, v6 dst_sel:DWORD dst_unused:UNUSED_PAD src0_sel:WORD_1 src1_sel:DWORD
	v_fma_f16 v6, v125, v6, -v8
	global_load_dword v8, v[4:5], off
	v_fma_f16 v7, v125, v14, v7
	v_pack_b32_f16 v7, v7, v6
	v_add_u32_e32 v6, 0xc0, v82
	ds_write2st64_b32 v6, v16, v7 offset0:50 offset1:57
	v_lshl_add_u64 v[4:5], v[4:5], 0, s[2:3]
	global_load_dword v14, v[4:5], off
	global_load_dword v87, v[12:13], off offset:3776
	v_lshl_add_u64 v[4:5], v[4:5], 0, s[2:3]
	global_load_dword v13, v[4:5], off
	global_load_dword v79, v[10:11], off offset:2688
	v_lshl_add_u64 v[4:5], v[4:5], 0, s[2:3]
	global_load_dword v11, v[4:5], off
	s_waitcnt vmcnt(25)
	v_lshrrev_b32_e32 v7, 16, v15
	s_waitcnt vmcnt(24)
	v_mul_f16_sdwa v9, v124, v7 dst_sel:DWORD dst_unused:UNUSED_PAD src0_sel:WORD_1 src1_sel:DWORD
	v_mul_f16_sdwa v12, v124, v15 dst_sel:DWORD dst_unused:UNUSED_PAD src0_sel:WORD_1 src1_sel:DWORD
	v_fma_f16 v9, v124, v15, v9
	v_fma_f16 v7, v124, v7, -v12
	v_pack_b32_f16 v9, v9, v7
	v_add_u32_e32 v7, 0x80, v82
	ds_write2st64_b32 v7, v17, v9 offset0:94 offset1:101
	s_movk_i32 s6, 0x70
	v_cmp_gt_u16_e64 s[6:7], s6, v84
	s_waitcnt vmcnt(23)
	v_lshrrev_b32_e32 v9, 16, v22
	s_waitcnt vmcnt(22)
	v_mul_f16_sdwa v10, v122, v9 dst_sel:DWORD dst_unused:UNUSED_PAD src0_sel:WORD_1 src1_sel:DWORD
	v_mul_f16_sdwa v12, v122, v22 dst_sel:DWORD dst_unused:UNUSED_PAD src0_sel:WORD_1 src1_sel:DWORD
	v_fma_f16 v10, v122, v22, v10
	v_fma_f16 v9, v122, v9, -v12
	v_pack_b32_f16 v9, v10, v9
	v_add_u32_e32 v12, 64, v82
	ds_write2st64_b32 v12, v18, v9 offset0:138 offset1:145
	s_waitcnt vmcnt(21)
	v_lshrrev_b32_e32 v9, 16, v23
	s_waitcnt vmcnt(20)
	v_mul_f16_sdwa v10, v121, v9 dst_sel:DWORD dst_unused:UNUSED_PAD src0_sel:WORD_1 src1_sel:DWORD
	v_mul_f16_sdwa v15, v121, v23 dst_sel:DWORD dst_unused:UNUSED_PAD src0_sel:WORD_1 src1_sel:DWORD
	v_fma_f16 v10, v121, v23, v10
	v_fma_f16 v9, v121, v9, -v15
	v_pack_b32_f16 v9, v10, v9
	ds_write2st64_b32 v82, v20, v9 offset0:14 offset1:21
	s_waitcnt vmcnt(19)
	v_lshrrev_b32_e32 v9, 16, v24
	s_waitcnt vmcnt(18)
	v_mul_f16_sdwa v10, v120, v9 dst_sel:DWORD dst_unused:UNUSED_PAD src0_sel:WORD_1 src1_sel:DWORD
	v_mul_f16_sdwa v15, v120, v24 dst_sel:DWORD dst_unused:UNUSED_PAD src0_sel:WORD_1 src1_sel:DWORD
	v_fma_f16 v10, v120, v24, v10
	v_fma_f16 v9, v120, v9, -v15
	v_pack_b32_f16 v9, v10, v9
	s_waitcnt vmcnt(17)
	v_lshrrev_b32_e32 v10, 16, v21
	s_waitcnt vmcnt(16)
	v_mul_f16_sdwa v15, v119, v10 dst_sel:DWORD dst_unused:UNUSED_PAD src0_sel:WORD_1 src1_sel:DWORD
	v_mul_f16_sdwa v16, v119, v21 dst_sel:DWORD dst_unused:UNUSED_PAD src0_sel:WORD_1 src1_sel:DWORD
	v_fma_f16 v15, v119, v21, v15
	v_fma_f16 v10, v119, v10, -v16
	v_pack_b32_f16 v10, v15, v10
	;; [unrolled: 8-line block ×5, first 2 shown]
	ds_write2st64_b32 v6, v9, v17 offset0:64 offset1:71
	s_waitcnt vmcnt(9)
	v_lshrrev_b32_e32 v9, 16, v27
	s_waitcnt vmcnt(8)
	v_mul_f16_sdwa v17, v115, v9 dst_sel:DWORD dst_unused:UNUSED_PAD src0_sel:WORD_1 src1_sel:DWORD
	v_mul_f16_sdwa v18, v115, v27 dst_sel:DWORD dst_unused:UNUSED_PAD src0_sel:WORD_1 src1_sel:DWORD
	v_fma_f16 v17, v115, v27, v17
	v_fma_f16 v9, v115, v9, -v18
	v_pack_b32_f16 v9, v17, v9
	ds_write2st64_b32 v7, v10, v9 offset0:108 offset1:115
	s_waitcnt vmcnt(7)
	v_lshrrev_b32_e32 v9, 16, v28
	s_waitcnt vmcnt(6)
	v_mul_f16_sdwa v10, v114, v9 dst_sel:DWORD dst_unused:UNUSED_PAD src0_sel:WORD_1 src1_sel:DWORD
	v_mul_f16_sdwa v17, v114, v28 dst_sel:DWORD dst_unused:UNUSED_PAD src0_sel:WORD_1 src1_sel:DWORD
	v_fma_f16 v10, v114, v28, v10
	v_fma_f16 v9, v114, v9, -v17
	v_pack_b32_f16 v9, v10, v9
	ds_write2st64_b32 v12, v15, v9 offset0:152 offset1:159
	s_waitcnt vmcnt(5)
	v_lshrrev_b32_e32 v9, 16, v8
	v_mul_f16_sdwa v10, v83, v9 dst_sel:DWORD dst_unused:UNUSED_PAD src0_sel:WORD_1 src1_sel:DWORD
	v_fma_f16 v10, v83, v8, v10
	v_mul_f16_sdwa v8, v83, v8 dst_sel:DWORD dst_unused:UNUSED_PAD src0_sel:WORD_1 src1_sel:DWORD
	v_fma_f16 v8, v83, v9, -v8
	v_pack_b32_f16 v8, v10, v8
	ds_write2st64_b32 v82, v16, v8 offset0:28 offset1:35
	s_waitcnt vmcnt(4)
	v_lshrrev_b32_e32 v8, 16, v14
	s_waitcnt vmcnt(3)
	v_mul_f16_sdwa v9, v87, v8 dst_sel:DWORD dst_unused:UNUSED_PAD src0_sel:WORD_1 src1_sel:DWORD
	v_mul_f16_sdwa v10, v87, v14 dst_sel:DWORD dst_unused:UNUSED_PAD src0_sel:WORD_1 src1_sel:DWORD
	v_fma_f16 v9, v87, v14, v9
	v_fma_f16 v8, v87, v8, -v10
	v_pack_b32_f16 v8, v9, v8
	ds_write_b32 v82, v8 offset:20160
	s_waitcnt vmcnt(2)
	v_lshrrev_b32_e32 v8, 16, v13
	s_waitcnt vmcnt(1)
	v_mul_f16_sdwa v9, v79, v8 dst_sel:DWORD dst_unused:UNUSED_PAD src0_sel:WORD_1 src1_sel:DWORD
	v_mul_f16_sdwa v10, v79, v13 dst_sel:DWORD dst_unused:UNUSED_PAD src0_sel:WORD_1 src1_sel:DWORD
	v_fma_f16 v9, v79, v13, v9
	v_fma_f16 v8, v79, v8, -v10
	v_pack_b32_f16 v8, v9, v8
	ds_write_b32 v82, v8 offset:31360
	s_waitcnt vmcnt(0)
	v_lshrrev_b32_e32 v8, 16, v11
	v_mul_f16_sdwa v9, v75, v8 dst_sel:DWORD dst_unused:UNUSED_PAD src0_sel:WORD_1 src1_sel:DWORD
	v_mul_f16_sdwa v10, v75, v11 dst_sel:DWORD dst_unused:UNUSED_PAD src0_sel:WORD_1 src1_sel:DWORD
	v_fma_f16 v9, v75, v11, v9
	v_fma_f16 v8, v75, v8, -v10
	v_pack_b32_f16 v8, v9, v8
	ds_write_b32 v82, v8 offset:42560
	s_and_saveexec_b64 s[14:15], s[6:7]
	s_cbranch_execz .LBB0_3
; %bb.2:
	v_lshl_add_u64 v[4:5], s[4:5], 2, v[4:5]
	v_add_co_u32_e32 v8, vcc, 0x2000, v80
	global_load_dword v10, v[4:5], off
	s_nop 0
	v_addc_co_u32_e32 v9, vcc, 0, v81, vcc
	v_lshl_add_u64 v[4:5], v[4:5], 0, s[2:3]
	global_load_dword v8, v[8:9], off offset:2560
	s_nop 0
	global_load_dword v9, v[4:5], off
	global_load_dword v11, v[0:1], off offset:1472
	v_lshl_add_u64 v[0:1], v[4:5], 0, s[2:3]
	global_load_dword v4, v[0:1], off
	global_load_dword v5, v[2:3], off offset:384
	v_lshl_add_u64 v[0:1], v[0:1], 0, s[2:3]
	global_load_dword v2, v[0:1], off
	v_add_co_u32_e32 v0, vcc, 0xa000, v80
	s_waitcnt vmcnt(4)
	v_lshrrev_b32_e32 v14, 16, v9
	v_addc_co_u32_e32 v1, vcc, 0, v81, vcc
	global_load_dword v0, v[0:1], off offset:3392
	v_lshrrev_b32_e32 v1, 16, v10
	v_mul_f16_sdwa v3, v8, v1 dst_sel:DWORD dst_unused:UNUSED_PAD src0_sel:WORD_1 src1_sel:DWORD
	v_mul_f16_sdwa v13, v8, v10 dst_sel:DWORD dst_unused:UNUSED_PAD src0_sel:WORD_1 src1_sel:DWORD
	s_waitcnt vmcnt(4)
	v_mul_f16_sdwa v15, v11, v9 dst_sel:DWORD dst_unused:UNUSED_PAD src0_sel:WORD_1 src1_sel:DWORD
	v_fma_f16 v3, v8, v10, v3
	v_fma_f16 v1, v8, v1, -v13
	v_mul_f16_sdwa v8, v11, v14 dst_sel:DWORD dst_unused:UNUSED_PAD src0_sel:WORD_1 src1_sel:DWORD
	s_waitcnt vmcnt(3)
	v_lshrrev_b32_e32 v13, 16, v4
	v_fma_f16 v10, v11, v14, -v15
	s_waitcnt vmcnt(2)
	v_mul_f16_sdwa v14, v5, v4 dst_sel:DWORD dst_unused:UNUSED_PAD src0_sel:WORD_1 src1_sel:DWORD
	v_pack_b32_f16 v1, v3, v1
	v_fma_f16 v3, v11, v9, v8
	v_mul_f16_sdwa v8, v5, v13 dst_sel:DWORD dst_unused:UNUSED_PAD src0_sel:WORD_1 src1_sel:DWORD
	s_waitcnt vmcnt(1)
	v_lshrrev_b32_e32 v11, 16, v2
	v_fma_f16 v9, v5, v13, -v14
	ds_write_b32 v82, v1 offset:10752
	v_pack_b32_f16 v1, v3, v10
	v_fma_f16 v3, v5, v4, v8
	ds_write_b32 v82, v1 offset:21952
	v_pack_b32_f16 v1, v3, v9
	ds_write_b32 v82, v1 offset:33152
	s_waitcnt vmcnt(0)
	v_mul_f16_sdwa v13, v0, v2 dst_sel:DWORD dst_unused:UNUSED_PAD src0_sel:WORD_1 src1_sel:DWORD
	v_mul_f16_sdwa v4, v0, v11 dst_sel:DWORD dst_unused:UNUSED_PAD src0_sel:WORD_1 src1_sel:DWORD
	v_fma_f16 v5, v0, v11, -v13
	v_fma_f16 v0, v0, v2, v4
	v_pack_b32_f16 v0, v0, v5
	ds_write_b32 v82, v0 offset:44352
.LBB0_3:
	s_or_b64 exec, exec, s[14:15]
	s_waitcnt lgkmcnt(0)
	s_barrier
	ds_read2st64_b32 v[22:23], v82 offset1:7
	ds_read2st64_b32 v[24:25], v6 offset0:43 offset1:50
	ds_read2st64_b32 v[20:21], v7 offset0:87 offset1:94
	;; [unrolled: 1-line block ×11, first 2 shown]
                                        ; implicit-def: $vgpr29
                                        ; implicit-def: $vgpr30
                                        ; implicit-def: $vgpr28
                                        ; implicit-def: $vgpr31
	s_and_saveexec_b64 s[2:3], s[6:7]
	s_cbranch_execz .LBB0_5
; %bb.4:
	ds_read_b32 v28, v82 offset:21952
	ds_read_b32 v30, v82 offset:33152
	ds_read_b32 v29, v82 offset:10752
	ds_read_b32 v31, v82 offset:44352
.LBB0_5:
	s_or_b64 exec, exec, s[2:3]
	s_mov_b64 s[2:3], 0x1c0
	v_lshl_add_u64 v[12:13], v[84:85], 0, s[2:3]
	s_mov_b64 s[2:3], 0x380
	v_lshl_add_u64 v[14:15], v[84:85], 0, s[2:3]
	;; [unrolled: 2-line block ×4, first 2 shown]
	s_mov_b64 s[2:3], 0xa80
	s_waitcnt lgkmcnt(5)
	v_pk_add_f16 v48, v8, v10 neg_lo:[0,1] neg_hi:[0,1]
	s_waitcnt lgkmcnt(1)
	v_pk_add_f16 v58, v0, v4 neg_lo:[0,1] neg_hi:[0,1]
	v_lshl_add_u64 v[34:35], v[84:85], 0, s[2:3]
	v_pk_add_f16 v49, v18, v16 neg_lo:[0,1] neg_hi:[0,1]
	v_lshrrev_b32_e32 v10, 16, v48
	s_waitcnt lgkmcnt(0)
	v_pk_add_f16 v59, v2, v6 neg_lo:[0,1] neg_hi:[0,1]
	v_lshrrev_b32_e32 v4, 16, v58
	v_pk_add_f16 v35, v22, v20 neg_lo:[0,1] neg_hi:[0,1]
	v_add_f16_e32 v51, v10, v49
	v_pk_add_f16 v11, v9, v11 neg_lo:[0,1] neg_hi:[0,1]
	v_add_f16_e32 v61, v4, v59
	v_pk_add_f16 v26, v24, v26 neg_lo:[0,1] neg_hi:[0,1]
	v_lshrrev_b32_e32 v13, 16, v35
	v_fma_f16 v53, v10, 2.0, -v51
	v_pk_add_f16 v17, v19, v17 neg_lo:[0,1] neg_hi:[0,1]
	v_lshrrev_b32_e32 v10, 16, v11
	v_fma_f16 v63, v4, 2.0, -v61
	v_pk_add_f16 v4, v1, v5 neg_lo:[0,1] neg_hi:[0,1]
	v_pk_add_f16 v5, v3, v7 neg_lo:[0,1] neg_hi:[0,1]
	v_add_f16_e32 v39, v13, v26
	v_pk_add_f16 v21, v23, v21 neg_lo:[0,1] neg_hi:[0,1]
	v_add_f16_e32 v55, v10, v17
	v_pk_fma_f16 v7, v1, 2.0, v4 op_sel_hi:[1,0,1] neg_lo:[0,0,1] neg_hi:[0,0,1]
	v_pk_fma_f16 v1, v3, 2.0, v5 op_sel_hi:[1,0,1] neg_lo:[0,0,1] neg_hi:[0,0,1]
	v_fma_f16 v41, v13, 2.0, -v39
	v_pk_add_f16 v42, v25, v27 neg_lo:[0,1] neg_hi:[0,1]
	v_lshrrev_b32_e32 v13, 16, v21
	v_fma_f16 v57, v10, 2.0, -v55
	v_pk_add_f16 v10, v7, v1 neg_lo:[0,1] neg_hi:[0,1]
	v_lshrrev_b32_e32 v1, 16, v4
	v_add_f16_e32 v45, v13, v42
	v_add_f16_e32 v37, v1, v5
	v_fma_f16 v47, v13, 2.0, -v45
	v_sub_f16_sdwa v20, v4, v5 dst_sel:DWORD dst_unused:UNUSED_PAD src0_sel:DWORD src1_sel:WORD_1
	v_fma_f16 v13, v1, 2.0, -v37
	v_pk_add_f16 v1, v29, v30 neg_lo:[0,1] neg_hi:[0,1]
	v_pk_add_f16 v3, v28, v31 neg_lo:[0,1] neg_hi:[0,1]
	v_fma_f16 v16, v4, 2.0, -v20
	v_pk_fma_f16 v4, v29, 2.0, v1 op_sel_hi:[1,0,1] neg_lo:[0,0,1] neg_hi:[0,0,1]
	v_pk_fma_f16 v5, v28, 2.0, v3 op_sel_hi:[1,0,1] neg_lo:[0,0,1] neg_hi:[0,0,1]
	v_sub_f16_sdwa v15, v1, v3 dst_sel:DWORD dst_unused:UNUSED_PAD src0_sel:DWORD src1_sel:WORD_1
	v_pk_add_f16 v6, v4, v5 neg_lo:[0,1] neg_hi:[0,1]
	v_lshrrev_b32_e32 v5, 16, v1
	v_add_f16_e32 v33, v3, v5
	v_pk_fma_f16 v3, v22, 2.0, v35 op_sel_hi:[1,0,1] neg_lo:[0,0,1] neg_hi:[0,0,1]
	v_pk_fma_f16 v22, v24, 2.0, v26 op_sel_hi:[1,0,1] neg_lo:[0,0,1] neg_hi:[0,0,1]
	v_sub_f16_sdwa v38, v35, v26 dst_sel:DWORD dst_unused:UNUSED_PAD src0_sel:DWORD src1_sel:WORD_1
	v_pk_add_f16 v28, v3, v22 neg_lo:[0,1] neg_hi:[0,1]
	v_fma_f16 v22, v1, 2.0, -v15
	v_fma_f16 v44, v5, 2.0, -v33
	v_lshrrev_b32_e32 v1, 16, v3
	v_lshrrev_b32_e32 v5, 16, v28
	v_fma_f16 v40, v35, 2.0, -v38
	v_fma_f16 v3, v3, 2.0, -v28
	;; [unrolled: 1-line block ×3, first 2 shown]
	v_lshlrev_b32_e32 v112, 4, v84
	v_pack_b32_f16 v29, v38, v39
	v_pack_b32_f16 v27, v40, v41
	;; [unrolled: 1-line block ×3, first 2 shown]
	v_pk_fma_f16 v1, v23, 2.0, v21 op_sel_hi:[1,0,1] neg_lo:[0,0,1] neg_hi:[0,0,1]
	v_pk_fma_f16 v3, v25, 2.0, v42 op_sel_hi:[1,0,1] neg_lo:[0,0,1] neg_hi:[0,0,1]
	s_barrier
	ds_write_b128 v112, v[26:29]
	v_pk_add_f16 v26, v1, v3 neg_lo:[0,1] neg_hi:[0,1]
	v_sub_f16_sdwa v43, v21, v42 dst_sel:DWORD dst_unused:UNUSED_PAD src0_sel:DWORD src1_sel:WORD_1
	v_lshrrev_b32_e32 v3, 16, v1
	v_lshrrev_b32_e32 v5, 16, v26
	v_fma_f16 v46, v21, 2.0, -v43
	v_fma_f16 v1, v1, 2.0, -v26
	;; [unrolled: 1-line block ×3, first 2 shown]
	v_lshlrev_b32_e32 v113, 4, v12
	v_pack_b32_f16 v27, v43, v45
	v_pack_b32_f16 v25, v46, v47
	;; [unrolled: 1-line block ×3, first 2 shown]
	v_pk_fma_f16 v1, v8, 2.0, v48 op_sel_hi:[1,0,1] neg_lo:[0,0,1] neg_hi:[0,0,1]
	v_pk_fma_f16 v3, v18, 2.0, v49 op_sel_hi:[1,0,1] neg_lo:[0,0,1] neg_hi:[0,0,1]
	ds_write_b128 v113, v[24:27]
	v_pk_add_f16 v26, v1, v3 neg_lo:[0,1] neg_hi:[0,1]
	v_sub_f16_sdwa v50, v48, v49 dst_sel:DWORD dst_unused:UNUSED_PAD src0_sel:DWORD src1_sel:WORD_1
	v_lshrrev_b32_e32 v3, 16, v1
	v_lshrrev_b32_e32 v5, 16, v26
	v_fma_f16 v52, v48, 2.0, -v50
	v_fma_f16 v1, v1, 2.0, -v26
	;; [unrolled: 1-line block ×3, first 2 shown]
	v_lshlrev_b32_e32 v136, 4, v14
	v_pack_b32_f16 v27, v50, v51
	v_pack_b32_f16 v25, v52, v53
	;; [unrolled: 1-line block ×3, first 2 shown]
	v_pk_fma_f16 v1, v9, 2.0, v11 op_sel_hi:[1,0,1] neg_lo:[0,0,1] neg_hi:[0,0,1]
	v_pk_fma_f16 v3, v19, 2.0, v17 op_sel_hi:[1,0,1] neg_lo:[0,0,1] neg_hi:[0,0,1]
	ds_write_b128 v136, v[24:27]
	v_pk_add_f16 v26, v1, v3 neg_lo:[0,1] neg_hi:[0,1]
	v_lshrrev_b32_e32 v3, 16, v1
	v_lshrrev_b32_e32 v5, 16, v26
	v_fma_f16 v1, v1, 2.0, -v26
	v_fma_f16 v3, v3, 2.0, -v5
	s_load_dwordx2 s[0:1], s[0:1], 0x8
	v_pack_b32_f16 v24, v1, v3
	v_pk_fma_f16 v0, v0, 2.0, v58 op_sel_hi:[1,0,1] neg_lo:[0,0,1] neg_hi:[0,0,1]
	v_pk_fma_f16 v1, v2, 2.0, v59 op_sel_hi:[1,0,1] neg_lo:[0,0,1] neg_hi:[0,0,1]
	v_sub_f16_sdwa v54, v11, v17 dst_sel:DWORD dst_unused:UNUSED_PAD src0_sel:DWORD src1_sel:WORD_1
	v_pk_add_f16 v2, v0, v1 neg_lo:[0,1] neg_hi:[0,1]
	v_sub_f16_sdwa v60, v58, v59 dst_sel:DWORD dst_unused:UNUSED_PAD src0_sel:DWORD src1_sel:WORD_1
	v_lshrrev_b32_e32 v1, 16, v0
	v_lshrrev_b32_e32 v3, 16, v2
	v_fma_f16 v56, v11, 2.0, -v54
	v_fma_f16 v62, v58, 2.0, -v60
	;; [unrolled: 1-line block ×4, first 2 shown]
	v_pk_fma_f16 v4, v4, 2.0, v6 op_sel_hi:[1,0,1] neg_lo:[0,0,1] neg_hi:[0,0,1]
	v_lshlrev_b32_e32 v137, 4, v36
	v_pack_b32_f16 v27, v54, v55
	v_pack_b32_f16 v25, v56, v57
	v_lshlrev_b32_e32 v68, 4, v32
	v_pack_b32_f16 v3, v60, v61
	v_pack_b32_f16 v1, v62, v63
	;; [unrolled: 1-line block ×3, first 2 shown]
	v_pk_fma_f16 v8, v7, 2.0, v10 op_sel_hi:[1,0,1] neg_lo:[0,0,1] neg_hi:[0,0,1]
	v_pack_b32_f16 v11, v20, v37
	v_pack_b32_f16 v9, v16, v13
	v_lshlrev_b32_e32 v138, 4, v34
	ds_write_b128 v137, v[24:27]
	ds_write_b128 v68, v[0:3]
	ds_write_b128 v112, v[8:11] offset:35840
	s_and_saveexec_b64 s[2:3], s[6:7]
	s_cbranch_execz .LBB0_7
; %bb.6:
	s_mov_b32 s4, 0x5040100
	v_perm_b32 v7, v33, v15, s4
	v_perm_b32 v5, v44, v22, s4
	ds_write_b128 v138, v[4:7]
.LBB0_7:
	s_or_b64 exec, exec, s[2:3]
	s_waitcnt lgkmcnt(0)
	s_barrier
	ds_read2st64_b32 v[18:19], v82 offset1:7
	ds_read2st64_b32 v[8:9], v82 offset0:14 offset1:25
	ds_read2st64_b32 v[40:41], v82 offset0:50 offset1:57
	;; [unrolled: 1-line block ×9, first 2 shown]
	ds_read_b32 v7, v82 offset:41984
	s_movk_i32 s2, 0x100
	v_cmp_gt_u16_e64 s[2:3], s2, v84
	s_and_saveexec_b64 s[4:5], s[2:3]
	s_cbranch_execz .LBB0_9
; %bb.8:
	ds_read2st64_b32 v[16:17], v82 offset0:21 offset1:46
	ds_read2st64_b32 v[20:21], v82 offset0:71 offset1:96
	;; [unrolled: 1-line block ×3, first 2 shown]
	ds_read_b32 v15, v82 offset:43776
	s_waitcnt lgkmcnt(3)
	v_lshrrev_b32_e32 v13, 16, v16
	s_waitcnt lgkmcnt(2)
	v_lshrrev_b32_e32 v37, 16, v20
	;; [unrolled: 2-line block ×4, first 2 shown]
	v_mov_b32_e32 v6, v23
	v_mov_b32_e32 v4, v21
	;; [unrolled: 1-line block ×3, first 2 shown]
.LBB0_9:
	s_or_b64 exec, exec, s[4:5]
	v_and_b32_e32 v85, 3, v84
	v_mul_u32_u24_e32 v0, 6, v85
	v_lshlrev_b32_e32 v5, 2, v0
	global_load_dwordx4 v[0:3], v5, s[0:1]
	global_load_dwordx2 v[88:89], v5, s[0:1] offset:16
	s_waitcnt lgkmcnt(9)
	v_lshrrev_b32_e32 v11, 16, v9
	s_waitcnt lgkmcnt(5)
	v_lshrrev_b32_e32 v56, 16, v26
	;; [unrolled: 2-line block ×4, first 2 shown]
	v_lshrrev_b32_e32 v17, 16, v40
	v_lshrrev_b32_e32 v45, 16, v27
	;; [unrolled: 1-line block ×9, first 2 shown]
	s_movk_i32 s5, 0x2b26
	s_movk_i32 s4, 0x3b00
	s_mov_b32 s14, 0xbcab
	s_movk_i32 s15, 0x39e0
	s_mov_b32 s19, 0xb9e0
	;; [unrolled: 2-line block ×3, first 2 shown]
	v_lshrrev_b32_e32 v49, 16, v30
	v_lshrrev_b32_e32 v50, 16, v43
	s_movk_i32 s18, 0x370e
	v_lshrrev_b32_e32 v53, 16, v39
	v_lshrrev_b32_e32 v54, 16, v24
	;; [unrolled: 1-line block ×3, first 2 shown]
	s_barrier
	v_mov_b32_e32 v5, 0
	v_lshrrev_b32_e32 v141, 2, v36
	s_waitcnt vmcnt(1)
	v_mul_f16_sdwa v59, v11, v0 dst_sel:DWORD dst_unused:UNUSED_PAD src0_sel:DWORD src1_sel:WORD_1
	v_mul_f16_sdwa v102, v56, v3 dst_sel:DWORD dst_unused:UNUSED_PAD src0_sel:DWORD src1_sel:WORD_1
	;; [unrolled: 1-line block ×3, first 2 shown]
	v_fma_f16 v9, v9, v0, -v59
	v_fma_f16 v59, v26, v3, -v102
	v_mul_f16_sdwa v26, v26, v3 dst_sel:DWORD dst_unused:UNUSED_PAD src0_sel:DWORD src1_sel:WORD_1
	v_fma_f16 v26, v56, v3, v26
	s_waitcnt vmcnt(0)
	v_mul_f16_sdwa v56, v57, v88 dst_sel:DWORD dst_unused:UNUSED_PAD src0_sel:DWORD src1_sel:WORD_1
	v_fma_f16 v56, v29, v88, -v56
	v_mul_f16_sdwa v29, v29, v88 dst_sel:DWORD dst_unused:UNUSED_PAD src0_sel:DWORD src1_sel:WORD_1
	v_fma_f16 v29, v57, v88, v29
	v_mul_f16_sdwa v57, v58, v89 dst_sel:DWORD dst_unused:UNUSED_PAD src0_sel:DWORD src1_sel:WORD_1
	v_fma_f16 v57, v7, v89, -v57
	v_mul_f16_sdwa v7, v7, v89 dst_sel:DWORD dst_unused:UNUSED_PAD src0_sel:DWORD src1_sel:WORD_1
	v_fma_f16 v7, v58, v89, v7
	v_lshrrev_b32_e32 v58, 16, v10
	v_fma_f16 v11, v11, v0, v60
	v_mul_f16_sdwa v60, v58, v0 dst_sel:DWORD dst_unused:UNUSED_PAD src0_sel:DWORD src1_sel:WORD_1
	v_fma_f16 v60, v10, v0, -v60
	v_mul_f16_sdwa v10, v10, v0 dst_sel:DWORD dst_unused:UNUSED_PAD src0_sel:DWORD src1_sel:WORD_1
	v_fma_f16 v10, v58, v0, v10
	v_mul_f16_sdwa v58, v37, v1 dst_sel:DWORD dst_unused:UNUSED_PAD src0_sel:DWORD src1_sel:WORD_1
	v_fma_f16 v58, v20, v1, -v58
	v_mul_f16_sdwa v20, v20, v1 dst_sel:DWORD dst_unused:UNUSED_PAD src0_sel:DWORD src1_sel:WORD_1
	v_mul_f16_sdwa v61, v17, v1 dst_sel:DWORD dst_unused:UNUSED_PAD src0_sel:DWORD src1_sel:WORD_1
	v_fma_f16 v20, v37, v1, v20
	v_lshrrev_b32_e32 v37, 16, v4
	v_mul_f16_sdwa v62, v40, v1 dst_sel:DWORD dst_unused:UNUSED_PAD src0_sel:DWORD src1_sel:WORD_1
	v_fma_f16 v40, v40, v1, -v61
	v_mul_f16_sdwa v61, v37, v2 dst_sel:DWORD dst_unused:UNUSED_PAD src0_sel:DWORD src1_sel:WORD_1
	v_fma_f16 v61, v4, v2, -v61
	v_mul_f16_sdwa v4, v4, v2 dst_sel:DWORD dst_unused:UNUSED_PAD src0_sel:DWORD src1_sel:WORD_1
	v_fma_f16 v4, v37, v2, v4
	v_mul_f16_sdwa v37, v44, v3 dst_sel:DWORD dst_unused:UNUSED_PAD src0_sel:DWORD src1_sel:WORD_1
	v_fma_f16 v37, v22, v3, -v37
	v_mul_f16_sdwa v22, v22, v3 dst_sel:DWORD dst_unused:UNUSED_PAD src0_sel:DWORD src1_sel:WORD_1
	v_fma_f16 v22, v44, v3, v22
	v_lshrrev_b32_e32 v44, 16, v6
	v_fma_f16 v17, v17, v1, v62
	v_mul_f16_sdwa v62, v44, v88 dst_sel:DWORD dst_unused:UNUSED_PAD src0_sel:DWORD src1_sel:WORD_1
	v_fma_f16 v62, v6, v88, -v62
	v_mul_f16_sdwa v6, v6, v88 dst_sel:DWORD dst_unused:UNUSED_PAD src0_sel:DWORD src1_sel:WORD_1
	v_mul_f16_sdwa v67, v45, v88 dst_sel:DWORD dst_unused:UNUSED_PAD src0_sel:DWORD src1_sel:WORD_1
	;; [unrolled: 1-line block ×5, first 2 shown]
	v_fma_f16 v6, v44, v88, v6
	v_mul_f16_sdwa v44, v33, v89 dst_sel:DWORD dst_unused:UNUSED_PAD src0_sel:DWORD src1_sel:WORD_1
	v_mul_f16_sdwa v63, v21, v2 dst_sel:DWORD dst_unused:UNUSED_PAD src0_sel:DWORD src1_sel:WORD_1
	;; [unrolled: 1-line block ×5, first 2 shown]
	v_fma_f16 v45, v45, v88, v69
	v_fma_f16 v46, v46, v89, v71
	v_fma_f16 v27, v27, v88, -v67
	v_fma_f16 v34, v34, v89, -v70
	;; [unrolled: 1-line block ×3, first 2 shown]
	v_mul_f16_sdwa v15, v15, v89 dst_sel:DWORD dst_unused:UNUSED_PAD src0_sel:DWORD src1_sel:WORD_1
	v_fma_f16 v42, v42, v3, -v65
	v_fma_f16 v21, v21, v2, v64
	v_fma_f16 v23, v23, v3, v66
	v_fma_f16 v25, v25, v2, -v63
	v_fma_f16 v15, v33, v89, v15
	v_add_f16_e32 v33, v9, v34
	v_add_f16_e32 v63, v11, v46
	v_sub_f16_e32 v9, v9, v34
	v_sub_f16_e32 v11, v11, v46
	v_add_f16_e32 v34, v40, v27
	v_add_f16_e32 v46, v17, v45
	v_sub_f16_e32 v27, v40, v27
	v_sub_f16_e32 v17, v17, v45
	;; [unrolled: 4-line block ×4, first 2 shown]
	v_sub_f16_e32 v33, v33, v40
	v_sub_f16_e32 v63, v63, v45
	;; [unrolled: 1-line block ×4, first 2 shown]
	v_add_f16_e32 v66, v25, v27
	v_add_f16_e32 v67, v21, v17
	v_sub_f16_e32 v69, v25, v27
	v_sub_f16_e32 v70, v21, v17
	;; [unrolled: 1-line block ×4, first 2 shown]
	v_add_f16_e32 v23, v40, v23
	v_add_f16_e32 v40, v45, v42
	v_sub_f16_e32 v25, v9, v25
	v_sub_f16_e32 v21, v11, v21
	v_add_f16_e32 v9, v66, v9
	v_add_f16_e32 v11, v67, v11
	;; [unrolled: 1-line block ×3, first 2 shown]
	v_add_f16_sdwa v45, v18, v40 dst_sel:DWORD dst_unused:UNUSED_PAD src0_sel:WORD_1 src1_sel:DWORD
	v_mul_f16_e32 v18, 0x3a52, v33
	v_mul_f16_e32 v33, 0x3a52, v63
	;; [unrolled: 1-line block ×8, first 2 shown]
	v_mul_f16_sdwa v72, v47, v0 dst_sel:DWORD dst_unused:UNUSED_PAD src0_sel:DWORD src1_sel:WORD_1
	v_mul_f16_sdwa v73, v38, v0 dst_sel:DWORD dst_unused:UNUSED_PAD src0_sel:DWORD src1_sel:WORD_1
	;; [unrolled: 1-line block ×8, first 2 shown]
	v_fma_f16 v23, v23, s14, v42
	v_fma_f16 v40, v40, s14, v45
	v_fma_f16 v34, v34, s5, v18
	v_fma_f16 v46, v46, s5, v33
	v_fma_f16 v63, v64, s15, -v63
	v_fma_f16 v66, v65, s15, -v66
	;; [unrolled: 1-line block ×4, first 2 shown]
	v_fma_f16 v64, v25, s20, v67
	v_fma_f16 v65, v21, s20, v69
	v_fma_f16 v27, v27, s4, -v67
	v_fma_f16 v17, v17, s4, -v69
	;; [unrolled: 1-line block ×4, first 2 shown]
	v_mul_f16_sdwa v77, v49, v2 dst_sel:DWORD dst_unused:UNUSED_PAD src0_sel:DWORD src1_sel:WORD_1
	v_mul_f16_sdwa v78, v30, v2 dst_sel:DWORD dst_unused:UNUSED_PAD src0_sel:DWORD src1_sel:WORD_1
	;; [unrolled: 1-line block ×4, first 2 shown]
	v_fma_f16 v41, v41, v1, -v74
	v_fma_f16 v47, v47, v0, v73
	v_fma_f16 v48, v48, v1, v76
	v_fma_f16 v38, v38, v0, -v72
	v_fma_f16 v28, v28, v88, -v92
	v_fma_f16 v51, v51, v88, v93
	v_fma_f16 v35, v35, v89, -v94
	v_fma_f16 v52, v52, v89, v95
	v_add_f16_e32 v34, v34, v23
	v_add_f16_e32 v46, v46, v40
	;; [unrolled: 1-line block ×6, first 2 shown]
	v_fma_f16 v33, v9, s18, v64
	v_fma_f16 v40, v11, s18, v65
	;; [unrolled: 1-line block ×6, first 2 shown]
	v_fma_f16 v43, v43, v3, -v90
	v_fma_f16 v49, v49, v2, v78
	v_fma_f16 v50, v50, v3, v91
	v_fma_f16 v30, v30, v2, -v77
	v_add_f16_e32 v64, v11, v18
	v_sub_f16_e32 v65, v23, v9
	v_sub_f16_e32 v67, v63, v17
	v_add_f16_e32 v69, v27, v66
	v_add_f16_e32 v63, v17, v63
	v_sub_f16_e32 v27, v66, v27
	v_sub_f16_e32 v66, v18, v11
	v_add_f16_e32 v23, v9, v23
	v_add_f16_e32 v9, v38, v35
	;; [unrolled: 1-line block ×3, first 2 shown]
	v_sub_f16_e32 v17, v38, v35
	v_add_f16_e32 v35, v41, v28
	v_add_f16_e32 v38, v48, v51
	;; [unrolled: 1-line block ×3, first 2 shown]
	v_sub_f16_e32 v25, v46, v33
	v_sub_f16_e32 v34, v34, v40
	v_add_f16_e32 v33, v33, v46
	v_sub_f16_e32 v18, v47, v52
	v_sub_f16_e32 v28, v41, v28
	;; [unrolled: 1-line block ×3, first 2 shown]
	v_add_f16_e32 v41, v30, v43
	v_add_f16_e32 v46, v49, v50
	v_sub_f16_e32 v30, v43, v30
	v_sub_f16_e32 v43, v50, v49
	v_add_f16_e32 v47, v35, v9
	v_add_f16_e32 v48, v38, v11
	v_sub_f16_e32 v49, v35, v9
	v_sub_f16_e32 v50, v38, v11
	;; [unrolled: 1-line block ×6, first 2 shown]
	v_add_f16_e32 v51, v30, v28
	v_add_f16_e32 v52, v43, v40
	v_sub_f16_e32 v70, v30, v28
	v_sub_f16_e32 v71, v43, v40
	;; [unrolled: 1-line block ×4, first 2 shown]
	v_add_f16_e32 v41, v41, v47
	v_add_f16_e32 v46, v46, v48
	v_sub_f16_e32 v30, v17, v30
	v_sub_f16_e32 v43, v18, v43
	v_add_f16_e32 v17, v51, v17
	v_add_f16_e32 v18, v52, v18
	;; [unrolled: 1-line block ×3, first 2 shown]
	v_add_f16_sdwa v52, v19, v46 dst_sel:DWORD dst_unused:UNUSED_PAD src0_sel:WORD_1 src1_sel:DWORD
	v_mul_f16_e32 v9, 0x3a52, v9
	v_mul_f16_e32 v11, 0x3a52, v11
	;; [unrolled: 1-line block ×8, first 2 shown]
	v_mul_f16_sdwa v96, v53, v0 dst_sel:DWORD dst_unused:UNUSED_PAD src0_sel:DWORD src1_sel:WORD_1
	v_mul_f16_sdwa v97, v39, v0 dst_sel:DWORD dst_unused:UNUSED_PAD src0_sel:DWORD src1_sel:WORD_1
	;; [unrolled: 1-line block ×4, first 2 shown]
	v_fma_f16 v41, v41, s14, v47
	v_fma_f16 v46, v46, s14, v52
	;; [unrolled: 1-line block ×4, first 2 shown]
	v_fma_f16 v19, v49, s15, -v19
	v_fma_f16 v48, v50, s15, -v48
	;; [unrolled: 1-line block ×4, first 2 shown]
	v_fma_f16 v49, v30, s20, v51
	v_fma_f16 v50, v43, s20, v70
	v_fma_f16 v28, v28, s4, -v51
	v_fma_f16 v40, v40, s4, -v70
	;; [unrolled: 1-line block ×4, first 2 shown]
	v_mul_f16_sdwa v100, v55, v2 dst_sel:DWORD dst_unused:UNUSED_PAD src0_sel:DWORD src1_sel:WORD_1
	v_mul_f16_sdwa v101, v31, v2 dst_sel:DWORD dst_unused:UNUSED_PAD src0_sel:DWORD src1_sel:WORD_1
	v_fma_f16 v39, v39, v0, -v96
	v_fma_f16 v53, v53, v0, v97
	v_fma_f16 v24, v24, v1, -v98
	v_fma_f16 v54, v54, v1, v99
	v_add_f16_e32 v35, v35, v41
	v_add_f16_e32 v38, v38, v46
	;; [unrolled: 1-line block ×6, first 2 shown]
	v_fma_f16 v41, v17, s18, v49
	v_fma_f16 v46, v18, s18, v50
	;; [unrolled: 1-line block ×6, first 2 shown]
	v_fma_f16 v31, v31, v2, -v100
	v_fma_f16 v55, v55, v2, v101
	v_add_f16_e32 v70, v18, v9
	v_sub_f16_e32 v71, v11, v17
	v_sub_f16_e32 v72, v19, v40
	v_add_f16_e32 v40, v40, v19
	v_sub_f16_e32 v74, v9, v18
	v_add_f16_e32 v76, v17, v11
	v_add_f16_e32 v9, v39, v57
	;; [unrolled: 1-line block ×6, first 2 shown]
	v_sub_f16_e32 v43, v38, v41
	v_add_f16_e32 v73, v28, v48
	v_sub_f16_e32 v28, v48, v28
	v_sub_f16_e32 v35, v35, v46
	v_add_f16_e32 v38, v41, v38
	v_sub_f16_e32 v17, v39, v57
	v_sub_f16_e32 v7, v53, v7
	;; [unrolled: 1-line block ×3, first 2 shown]
	v_add_f16_e32 v39, v31, v59
	v_add_f16_e32 v41, v55, v26
	v_sub_f16_e32 v26, v26, v55
	v_add_f16_e32 v46, v18, v9
	v_add_f16_e32 v48, v19, v11
	v_sub_f16_e32 v24, v24, v56
	v_sub_f16_e32 v31, v59, v31
	v_sub_f16_e32 v49, v18, v9
	v_sub_f16_e32 v50, v19, v11
	v_sub_f16_e32 v9, v9, v39
	v_sub_f16_e32 v11, v11, v41
	v_sub_f16_e32 v18, v39, v18
	v_sub_f16_e32 v19, v41, v19
	v_add_f16_e32 v53, v26, v29
	v_sub_f16_e32 v55, v26, v29
	v_sub_f16_e32 v29, v29, v7
	v_add_f16_e32 v39, v39, v46
	v_add_f16_e32 v41, v41, v48
	;; [unrolled: 1-line block ×3, first 2 shown]
	v_sub_f16_e32 v54, v31, v24
	v_sub_f16_e32 v26, v7, v26
	;; [unrolled: 1-line block ×3, first 2 shown]
	v_add_f16_e32 v7, v53, v7
	v_add_f16_e32 v46, v8, v39
	v_add_f16_sdwa v56, v8, v41 dst_sel:DWORD dst_unused:UNUSED_PAD src0_sel:WORD_1 src1_sel:DWORD
	v_mul_f16_e32 v8, 0x3a52, v9
	v_mul_f16_e32 v9, 0x3a52, v11
	;; [unrolled: 1-line block ×6, first 2 shown]
	v_sub_f16_e32 v31, v17, v31
	v_add_f16_e32 v17, v51, v17
	v_mul_f16_e32 v51, 0xb846, v54
	v_mul_f16_e32 v54, 0x3b00, v24
	v_fma_f16 v39, v39, s14, v46
	v_fma_f16 v41, v41, s14, v56
	;; [unrolled: 1-line block ×4, first 2 shown]
	v_fma_f16 v11, v49, s15, -v11
	v_fma_f16 v48, v50, s15, -v48
	;; [unrolled: 1-line block ×4, first 2 shown]
	v_fma_f16 v50, v26, s20, v53
	v_fma_f16 v29, v29, s4, -v53
	v_fma_f16 v26, v26, s21, -v55
	v_fma_f16 v49, v31, s20, v51
	v_fma_f16 v24, v24, s4, -v51
	v_fma_f16 v31, v31, s21, -v54
	v_add_f16_e32 v19, v19, v41
	v_add_f16_e32 v11, v11, v39
	;; [unrolled: 1-line block ×5, first 2 shown]
	v_fma_f16 v41, v7, s18, v50
	v_fma_f16 v29, v7, s18, v29
	v_fma_f16 v7, v7, s18, v26
	v_add_f16_e32 v18, v18, v39
	v_fma_f16 v39, v17, s18, v49
	v_fma_f16 v24, v17, s18, v24
	;; [unrolled: 1-line block ×3, first 2 shown]
	v_add_f16_e32 v55, v7, v8
	v_sub_f16_e32 v59, v11, v29
	v_add_f16_e32 v29, v29, v11
	v_sub_f16_e32 v78, v8, v7
	v_add_f16_e32 v7, v60, v44
	v_add_f16_e32 v8, v10, v15
	v_sub_f16_e32 v10, v10, v15
	v_add_f16_e32 v11, v58, v62
	v_add_f16_e32 v15, v20, v6
	v_add_f16_e32 v26, v41, v18
	v_sub_f16_e32 v31, v19, v39
	v_sub_f16_e32 v57, v9, v17
	v_add_f16_e32 v90, v17, v9
	v_sub_f16_e32 v41, v18, v41
	v_add_f16_e32 v39, v39, v19
	v_sub_f16_e32 v9, v60, v44
	v_sub_f16_e32 v17, v58, v62
	;; [unrolled: 1-line block ×3, first 2 shown]
	v_add_f16_e32 v18, v61, v37
	v_add_f16_e32 v19, v4, v22
	v_sub_f16_e32 v20, v37, v61
	v_sub_f16_e32 v4, v22, v4
	v_add_f16_e32 v22, v11, v7
	v_add_f16_e32 v37, v15, v8
	;; [unrolled: 1-line block ×3, first 2 shown]
	v_sub_f16_e32 v24, v48, v24
	v_sub_f16_e32 v44, v11, v7
	;; [unrolled: 1-line block ×7, first 2 shown]
	v_add_f16_e32 v49, v20, v17
	v_add_f16_e32 v50, v4, v6
	v_sub_f16_e32 v51, v20, v17
	v_sub_f16_e32 v17, v17, v9
	v_add_f16_e32 v18, v18, v22
	v_add_f16_e32 v19, v19, v37
	v_sub_f16_e32 v53, v4, v6
	v_sub_f16_e32 v20, v9, v20
	;; [unrolled: 1-line block ×4, first 2 shown]
	v_add_f16_e32 v22, v49, v9
	v_add_f16_e32 v37, v50, v10
	;; [unrolled: 1-line block ×4, first 2 shown]
	v_mul_f16_e32 v7, 0x3a52, v7
	v_mul_f16_e32 v8, 0x3a52, v8
	;; [unrolled: 1-line block ×7, first 2 shown]
	v_fma_f16 v18, v18, s14, v4
	v_fma_f16 v19, v19, s14, v6
	;; [unrolled: 1-line block ×4, first 2 shown]
	v_fma_f16 v10, v48, s15, -v10
	v_fma_f16 v48, v48, s19, -v8
	v_fma_f16 v51, v20, s20, v13
	v_fma_f16 v17, v17, s4, -v13
	v_fma_f16 v20, v20, s21, -v49
	v_mul_f16_e32 v50, 0x3b00, v58
	v_fma_f16 v9, v44, s15, -v9
	v_fma_f16 v44, v44, s19, -v7
	v_fma_f16 v53, v54, s20, v16
	v_fma_f16 v58, v58, s4, -v16
	v_add_f16_e32 v7, v11, v18
	v_add_f16_e32 v8, v15, v19
	;; [unrolled: 1-line block ×4, first 2 shown]
	v_fma_f16 v11, v22, s18, v51
	v_fma_f16 v17, v22, s18, v17
	;; [unrolled: 1-line block ×3, first 2 shown]
	v_lshrrev_b32_e32 v22, 2, v84
	v_mul_u32_u24_e32 v22, 28, v22
	v_or_b32_e32 v22, v22, v85
	v_lshlrev_b32_e32 v139, 2, v22
	v_pack_b32_f16 v22, v42, v45
	v_pack_b32_f16 v21, v21, v25
	ds_write2_b32 v139, v22, v21 offset1:4
	v_pack_b32_f16 v21, v64, v65
	v_pack_b32_f16 v22, v67, v69
	ds_write2_b32 v139, v21, v22 offset0:8 offset1:12
	v_pack_b32_f16 v21, v63, v27
	v_pack_b32_f16 v22, v66, v23
	ds_write2_b32 v139, v21, v22 offset0:16 offset1:20
	v_pack_b32_f16 v21, v34, v33
	ds_write_b32 v139, v21 offset:96
	v_lshrrev_b32_e32 v21, 2, v12
	v_mul_u32_u24_e32 v21, 28, v21
	v_or_b32_e32 v21, v21, v85
	v_lshlrev_b32_e32 v140, 2, v21
	v_pack_b32_f16 v21, v47, v52
	v_pack_b32_f16 v22, v30, v43
	ds_write2_b32 v140, v21, v22 offset1:4
	v_pack_b32_f16 v21, v70, v71
	v_pack_b32_f16 v22, v72, v73
	ds_write2_b32 v140, v21, v22 offset0:8 offset1:12
	v_pack_b32_f16 v21, v40, v28
	v_pack_b32_f16 v22, v74, v76
	ds_write2_b32 v140, v21, v22 offset0:16 offset1:20
	v_pack_b32_f16 v21, v35, v38
	ds_write_b32 v140, v21 offset:96
	v_lshrrev_b32_e32 v21, 2, v14
	v_mul_u32_u24_e32 v21, 28, v21
	v_or_b32_e32 v21, v21, v85
	v_lshlrev_b32_e32 v142, 2, v21
	v_pack_b32_f16 v21, v46, v56
	v_pack_b32_f16 v22, v26, v31
	v_fma_f16 v49, v54, s21, -v50
	ds_write2_b32 v142, v21, v22 offset1:4
	v_pack_b32_f16 v21, v55, v57
	v_pack_b32_f16 v22, v59, v77
	v_add_f16_e32 v9, v9, v18
	v_add_f16_e32 v10, v44, v18
	v_fma_f16 v13, v37, s18, v53
	v_fma_f16 v18, v37, s18, v58
	;; [unrolled: 1-line block ×3, first 2 shown]
	ds_write2_b32 v142, v21, v22 offset0:8 offset1:12
	v_pack_b32_f16 v21, v29, v24
	v_pack_b32_f16 v22, v78, v90
	v_add_f16_e32 v50, v18, v9
	v_sub_f16_e32 v54, v15, v17
	v_sub_f16_e32 v49, v10, v20
	v_add_f16_e32 v53, v19, v16
	v_sub_f16_e32 v48, v7, v13
	v_add_f16_e32 v51, v11, v8
	ds_write2_b32 v142, v21, v22 offset0:16 offset1:20
	v_pack_b32_f16 v21, v41, v39
	ds_write_b32 v142, v21 offset:96
	s_and_saveexec_b64 s[4:5], s[2:3]
	s_cbranch_execz .LBB0_11
; %bb.10:
	v_sub_f16_e32 v8, v8, v11
	v_mul_u32_u24_e32 v11, 28, v141
	v_add_f16_e32 v7, v13, v7
	v_or_b32_e32 v11, v11, v85
	s_mov_b32 s14, 0x5040100
	v_add_f16_e32 v15, v17, v15
	v_sub_f16_e32 v9, v9, v18
	v_sub_f16_e32 v16, v16, v19
	v_add_f16_e32 v10, v20, v10
	v_lshlrev_b32_e32 v11, 2, v11
	v_perm_b32 v4, v6, v4, s14
	v_pack_b32_f16 v6, v7, v8
	ds_write2_b32 v11, v4, v6 offset1:4
	v_pack_b32_f16 v4, v10, v16
	v_pack_b32_f16 v6, v9, v15
	ds_write2_b32 v11, v4, v6 offset0:8 offset1:12
	v_perm_b32 v4, v54, v50, s14
	v_perm_b32 v6, v53, v49, s14
	ds_write2_b32 v11, v4, v6 offset0:16 offset1:20
	v_perm_b32 v4, v51, v48, s14
	ds_write_b32 v11, v4 offset:96
.LBB0_11:
	s_or_b64 exec, exec, s[4:5]
	v_lshrrev_b16_e32 v4, 2, v84
	v_mul_u32_u24_e32 v4, 0x4925, v4
	v_lshrrev_b32_e32 v13, 17, v4
	v_mul_lo_u16_e32 v4, 28, v13
	v_sub_u16_e32 v15, v84, v4
	v_lshlrev_b16_e32 v4, 4, v15
	v_lshl_add_u64 v[6:7], s[0:1], 0, v[4:5]
	v_lshrrev_b16_e32 v4, 2, v12
	s_waitcnt lgkmcnt(0)
	s_barrier
	global_load_dwordx4 v[16:19], v[6:7], off offset:96
	v_mul_u32_u24_e32 v4, 0x4925, v4
	v_lshrrev_b32_e32 v37, 17, v4
	v_mul_lo_u16_e32 v4, 28, v37
	v_sub_u16_e32 v66, v12, v4
	v_lshlrev_b16_e32 v4, 4, v66
	v_lshl_add_u64 v[6:7], s[0:1], 0, v[4:5]
	global_load_dwordx4 v[20:23], v[6:7], off offset:96
	v_lshrrev_b16_e32 v4, 2, v14
	v_mul_u32_u24_e32 v4, 0x4925, v4
	v_lshrrev_b32_e32 v72, 17, v4
	v_mul_lo_u16_e32 v4, 28, v72
	v_sub_u16_e32 v73, v14, v4
	v_lshlrev_b16_e32 v4, 4, v73
	v_lshl_add_u64 v[8:9], s[0:1], 0, v[4:5]
	ds_read2st64_b32 v[10:11], v82 offset1:7
	ds_read2st64_b32 v[6:7], v82 offset0:28 offset1:35
	ds_read2st64_b32 v[38:39], v82 offset0:70 offset1:77
	;; [unrolled: 1-line block ×6, first 2 shown]
	global_load_dwordx4 v[24:27], v[8:9], off offset:96
	v_lshrrev_b16_e32 v4, 2, v36
	v_mul_u32_u24_e32 v4, 0x4925, v4
	v_lshrrev_b32_e32 v74, 17, v4
	v_mul_lo_u16_e32 v4, 28, v74
	v_sub_u16_e32 v76, v36, v4
	v_lshrrev_b16_e32 v28, 2, v32
	v_lshlrev_b16_e32 v4, 4, v76
	v_mul_u32_u24_e32 v33, 0x4925, v28
	v_lshl_add_u64 v[28:29], s[0:1], 0, v[4:5]
	ds_read2st64_b32 v[8:9], v82 offset0:14 offset1:21
	ds_read2st64_b32 v[56:57], v82 offset0:84 offset1:91
	;; [unrolled: 1-line block ×5, first 2 shown]
	ds_read_b32 v55, v82 offset:43008
	global_load_dwordx4 v[28:31], v[28:29], off offset:96
	v_lshrrev_b32_e32 v77, 17, v33
	v_mul_lo_u16_e32 v4, 28, v77
	v_sub_u16_e32 v78, v32, v4
	v_lshlrev_b16_e32 v4, 4, v78
	v_lshl_add_u64 v[4:5], s[0:1], 0, v[4:5]
	global_load_dwordx4 v[32:35], v[4:5], off offset:96
	s_waitcnt lgkmcnt(11)
	v_lshrrev_b32_e32 v67, 16, v7
	s_waitcnt lgkmcnt(10)
	v_lshrrev_b32_e32 v69, 16, v38
	;; [unrolled: 2-line block ×5, first 2 shown]
	v_lshrrev_b32_e32 v92, 16, v39
	s_waitcnt lgkmcnt(6)
	v_lshrrev_b32_e32 v93, 16, v46
	v_lshrrev_b32_e32 v94, 16, v43
	;; [unrolled: 1-line block ×3, first 2 shown]
	s_waitcnt lgkmcnt(4)
	v_lshrrev_b32_e32 v95, 16, v56
	v_lshrrev_b32_e32 v96, 16, v47
	s_waitcnt lgkmcnt(3)
	v_lshrrev_b32_e32 v97, 16, v58
	s_waitcnt lgkmcnt(2)
	v_lshrrev_b32_e32 v99, 16, v62
	v_lshrrev_b32_e32 v100, 16, v57
	s_waitcnt lgkmcnt(1)
	v_lshrrev_b32_e32 v101, 16, v64
	v_lshrrev_b32_e32 v102, 16, v59
	;; [unrolled: 1-line block ×5, first 2 shown]
	s_waitcnt lgkmcnt(0)
	v_lshrrev_b32_e32 v107, 16, v55
	s_movk_i32 s5, 0x3b9c
	s_mov_b32 s15, 0xbb9c
	s_movk_i32 s4, 0x38b4
	s_mov_b32 s18, 0xb8b4
	s_movk_i32 s14, 0x34f2
	v_lshrrev_b32_e32 v61, 16, v10
	v_lshrrev_b32_e32 v90, 16, v11
	;; [unrolled: 1-line block ×5, first 2 shown]
	s_barrier
	v_lshlrev_b32_e32 v60, 2, v84
	v_lshlrev_b32_e32 v52, 2, v12
                                        ; implicit-def: $vgpr155
                                        ; implicit-def: $vgpr156
                                        ; implicit-def: $vgpr157
                                        ; implicit-def: $vgpr158
	s_waitcnt vmcnt(4)
	v_mul_f16_sdwa v108, v67, v16 dst_sel:DWORD dst_unused:UNUSED_PAD src0_sel:DWORD src1_sel:WORD_1
	v_mul_f16_sdwa v110, v69, v17 dst_sel:DWORD dst_unused:UNUSED_PAD src0_sel:DWORD src1_sel:WORD_1
	;; [unrolled: 1-line block ×3, first 2 shown]
	v_fma_f16 v7, v7, v16, -v108
	v_fma_f16 v108, v38, v17, -v110
	v_mul_f16_sdwa v38, v38, v17 dst_sel:DWORD dst_unused:UNUSED_PAD src0_sel:DWORD src1_sel:WORD_1
	v_fma_f16 v38, v69, v17, v38
	v_mul_f16_sdwa v69, v70, v18 dst_sel:DWORD dst_unused:UNUSED_PAD src0_sel:DWORD src1_sel:WORD_1
	v_fma_f16 v69, v41, v18, -v69
	v_mul_f16_sdwa v41, v41, v18 dst_sel:DWORD dst_unused:UNUSED_PAD src0_sel:DWORD src1_sel:WORD_1
	v_fma_f16 v41, v70, v18, v41
	v_mul_f16_sdwa v70, v71, v19 dst_sel:DWORD dst_unused:UNUSED_PAD src0_sel:DWORD src1_sel:WORD_1
	v_fma_f16 v70, v42, v19, -v70
	v_mul_f16_sdwa v42, v42, v19 dst_sel:DWORD dst_unused:UNUSED_PAD src0_sel:DWORD src1_sel:WORD_1
	v_fma_f16 v42, v71, v19, v42
	s_waitcnt vmcnt(3)
	v_mul_f16_sdwa v71, v91, v20 dst_sel:DWORD dst_unused:UNUSED_PAD src0_sel:DWORD src1_sel:WORD_1
	v_fma_f16 v71, v44, v20, -v71
	v_mul_f16_sdwa v44, v44, v20 dst_sel:DWORD dst_unused:UNUSED_PAD src0_sel:DWORD src1_sel:WORD_1
	v_fma_f16 v44, v91, v20, v44
	v_mul_f16_sdwa v91, v92, v21 dst_sel:DWORD dst_unused:UNUSED_PAD src0_sel:DWORD src1_sel:WORD_1
	v_fma_f16 v91, v39, v21, -v91
	v_mul_f16_sdwa v39, v39, v21 dst_sel:DWORD dst_unused:UNUSED_PAD src0_sel:DWORD src1_sel:WORD_1
	v_fma_f16 v39, v92, v21, v39
	v_mul_f16_sdwa v92, v93, v22 dst_sel:DWORD dst_unused:UNUSED_PAD src0_sel:DWORD src1_sel:WORD_1
	v_fma_f16 v92, v46, v22, -v92
	v_mul_f16_sdwa v46, v46, v22 dst_sel:DWORD dst_unused:UNUSED_PAD src0_sel:DWORD src1_sel:WORD_1
	v_fma_f16 v46, v93, v22, v46
	v_mul_f16_sdwa v93, v94, v23 dst_sel:DWORD dst_unused:UNUSED_PAD src0_sel:DWORD src1_sel:WORD_1
	v_fma_f16 v93, v43, v23, -v93
	v_mul_f16_sdwa v43, v43, v23 dst_sel:DWORD dst_unused:UNUSED_PAD src0_sel:DWORD src1_sel:WORD_1
	v_fma_f16 v43, v94, v23, v43
	s_waitcnt vmcnt(2)
	v_mul_f16_sdwa v94, v5, v24 dst_sel:DWORD dst_unused:UNUSED_PAD src0_sel:DWORD src1_sel:WORD_1
	v_fma_f16 v94, v45, v24, -v94
	v_mul_f16_sdwa v45, v45, v24 dst_sel:DWORD dst_unused:UNUSED_PAD src0_sel:DWORD src1_sel:WORD_1
	v_fma_f16 v5, v5, v24, v45
	v_mul_f16_sdwa v45, v95, v25 dst_sel:DWORD dst_unused:UNUSED_PAD src0_sel:DWORD src1_sel:WORD_1
	;; [unrolled: 17-line block ×3, first 2 shown]
	v_fma_f16 v99, v57, v29, -v99
	v_mul_f16_sdwa v57, v57, v29 dst_sel:DWORD dst_unused:UNUSED_PAD src0_sel:DWORD src1_sel:WORD_1
	v_fma_f16 v100, v100, v29, v57
	v_mul_f16_sdwa v57, v101, v30 dst_sel:DWORD dst_unused:UNUSED_PAD src0_sel:DWORD src1_sel:WORD_1
	v_fma_f16 v57, v64, v30, -v57
	v_mul_f16_sdwa v64, v64, v30 dst_sel:DWORD dst_unused:UNUSED_PAD src0_sel:DWORD src1_sel:WORD_1
	v_fma_f16 v64, v101, v30, v64
	v_mul_f16_sdwa v101, v102, v31 dst_sel:DWORD dst_unused:UNUSED_PAD src0_sel:DWORD src1_sel:WORD_1
	v_fma_f16 v101, v59, v31, -v101
	v_mul_f16_sdwa v59, v59, v31 dst_sel:DWORD dst_unused:UNUSED_PAD src0_sel:DWORD src1_sel:WORD_1
	v_fma_f16 v102, v102, v31, v59
	s_waitcnt vmcnt(0)
	v_mul_f16_sdwa v59, v104, v32 dst_sel:DWORD dst_unused:UNUSED_PAD src0_sel:DWORD src1_sel:WORD_1
	v_fma_f16 v67, v67, v16, v109
	v_fma_f16 v109, v63, v32, -v59
	v_mul_f16_sdwa v59, v63, v32 dst_sel:DWORD dst_unused:UNUSED_PAD src0_sel:DWORD src1_sel:WORD_1
	v_fma_f16 v63, v104, v32, v59
	v_mul_f16_sdwa v59, v105, v33 dst_sel:DWORD dst_unused:UNUSED_PAD src0_sel:DWORD src1_sel:WORD_1
	v_fma_f16 v104, v40, v33, -v59
	v_mul_f16_sdwa v40, v40, v33 dst_sel:DWORD dst_unused:UNUSED_PAD src0_sel:DWORD src1_sel:WORD_1
	v_mul_f16_sdwa v59, v106, v34 dst_sel:DWORD dst_unused:UNUSED_PAD src0_sel:DWORD src1_sel:WORD_1
	v_fma_f16 v40, v105, v33, v40
	v_fma_f16 v105, v65, v34, -v59
	v_mul_f16_sdwa v59, v65, v34 dst_sel:DWORD dst_unused:UNUSED_PAD src0_sel:DWORD src1_sel:WORD_1
	v_fma_f16 v65, v106, v34, v59
	v_mul_f16_sdwa v59, v107, v35 dst_sel:DWORD dst_unused:UNUSED_PAD src0_sel:DWORD src1_sel:WORD_1
	v_fma_f16 v106, v55, v35, -v59
	v_mul_f16_sdwa v55, v55, v35 dst_sel:DWORD dst_unused:UNUSED_PAD src0_sel:DWORD src1_sel:WORD_1
	v_fma_f16 v107, v107, v35, v55
	v_add_f16_e32 v55, v10, v7
	v_add_f16_e32 v55, v55, v108
	;; [unrolled: 1-line block ×5, first 2 shown]
	v_fma_f16 v55, v55, -0.5, v10
	v_sub_f16_e32 v59, v67, v42
	v_fma_f16 v111, v59, s5, v55
	v_sub_f16_e32 v134, v38, v41
	v_sub_f16_e32 v135, v7, v108
	v_sub_f16_e32 v143, v70, v69
	v_fma_f16 v55, v59, s15, v55
	v_fma_f16 v111, v134, s4, v111
	v_add_f16_e32 v135, v135, v143
	v_fma_f16 v55, v134, s18, v55
	v_fma_f16 v111, v135, s14, v111
	;; [unrolled: 1-line block ×3, first 2 shown]
	v_add_f16_e32 v55, v7, v70
	v_fma_f16 v10, v55, -0.5, v10
	v_fma_f16 v55, v134, s15, v10
	v_sub_f16_e32 v143, v108, v7
	v_sub_f16_e32 v144, v69, v70
	v_fma_f16 v55, v59, s4, v55
	v_add_f16_e32 v143, v143, v144
	v_fma_f16 v144, v143, s14, v55
	v_add_f16_e32 v55, v61, v67
	v_add_f16_e32 v55, v55, v38
	;; [unrolled: 1-line block ×3, first 2 shown]
	v_fma_f16 v10, v134, s5, v10
	v_add_f16_e32 v134, v55, v42
	v_add_f16_e32 v55, v38, v41
	v_fma_f16 v55, v55, -0.5, v61
	v_sub_f16_e32 v7, v7, v70
	v_fma_f16 v10, v59, s18, v10
	v_fma_f16 v59, v7, s15, v55
	v_sub_f16_e32 v69, v108, v69
	v_sub_f16_e32 v70, v67, v38
	;; [unrolled: 1-line block ×3, first 2 shown]
	v_fma_f16 v55, v7, s5, v55
	v_add_f16_e32 v70, v70, v108
	v_fma_f16 v55, v69, s4, v55
	v_fma_f16 v145, v70, s14, v55
	v_add_f16_e32 v55, v67, v42
	v_fma_f16 v59, v69, s18, v59
	v_fma_f16 v55, v55, -0.5, v61
	v_fma_f16 v108, v70, s14, v59
	v_fma_f16 v59, v69, s5, v55
	v_sub_f16_e32 v41, v41, v42
	v_fma_f16 v42, v69, s15, v55
	v_fma_f16 v59, v7, s18, v59
	v_sub_f16_e32 v38, v38, v67
	v_fma_f16 v7, v7, s4, v42
	v_add_f16_e32 v42, v91, v92
	v_add_f16_e32 v38, v38, v41
	v_fma_f16 v42, v42, -0.5, v11
	v_sub_f16_e32 v55, v44, v43
	v_fma_f16 v41, v38, s14, v59
	v_fma_f16 v59, v55, s5, v42
	v_sub_f16_e32 v61, v39, v46
	v_sub_f16_e32 v67, v71, v91
	;; [unrolled: 1-line block ×3, first 2 shown]
	v_fma_f16 v59, v61, s4, v59
	v_add_f16_e32 v67, v67, v69
	v_fma_f16 v146, v67, s14, v59
	v_add_f16_e32 v59, v71, v93
	;; [unrolled: 2-line block ×3, first 2 shown]
	v_fma_f16 v11, v59, -0.5, v11
	v_fma_f16 v59, v61, s15, v11
	v_fma_f16 v11, v61, s5, v11
	;; [unrolled: 1-line block ×5, first 2 shown]
	v_add_f16_e32 v55, v90, v44
	v_fma_f16 v42, v61, s18, v42
	v_add_f16_e32 v55, v55, v39
	v_fma_f16 v42, v67, s14, v42
	v_sub_f16_e32 v67, v91, v71
	v_sub_f16_e32 v69, v92, v93
	v_add_f16_e32 v55, v55, v46
	v_add_f16_e32 v67, v67, v69
	;; [unrolled: 1-line block ×4, first 2 shown]
	v_fma_f16 v147, v67, s14, v59
	v_fma_f16 v55, v55, -0.5, v90
	v_sub_f16_e32 v59, v71, v93
	v_fma_f16 v11, v67, s14, v11
	v_fma_f16 v61, v59, s15, v55
	v_sub_f16_e32 v67, v91, v92
	v_sub_f16_e32 v69, v44, v39
	;; [unrolled: 1-line block ×3, first 2 shown]
	v_fma_f16 v55, v59, s5, v55
	v_add_f16_e32 v69, v69, v70
	v_fma_f16 v55, v67, s4, v55
	v_fma_f16 v149, v69, s14, v55
	v_add_f16_e32 v55, v44, v43
	v_add_f16_e32 v38, v38, v91
	v_fma_f16 v61, v67, s18, v61
	v_fma_f16 v55, v55, -0.5, v90
	v_add_f16_e32 v38, v38, v92
	v_fma_f16 v92, v69, s14, v61
	v_fma_f16 v61, v67, s5, v55
	v_sub_f16_e32 v39, v39, v44
	v_sub_f16_e32 v43, v46, v43
	v_add_f16_e32 v46, v45, v95
	v_fma_f16 v61, v59, s18, v61
	v_add_f16_e32 v39, v39, v43
	v_fma_f16 v44, v67, s15, v55
	v_fma_f16 v46, v46, -0.5, v8
	v_sub_f16_e32 v55, v5, v58
	v_fma_f16 v43, v39, s14, v61
	v_fma_f16 v44, v59, s4, v44
	;; [unrolled: 1-line block ×3, first 2 shown]
	v_sub_f16_e32 v61, v56, v47
	v_sub_f16_e32 v67, v94, v45
	;; [unrolled: 1-line block ×3, first 2 shown]
	v_fma_f16 v59, v61, s4, v59
	v_add_f16_e32 v67, v67, v69
	v_fma_f16 v150, v67, s14, v59
	v_add_f16_e32 v59, v94, v96
	;; [unrolled: 2-line block ×3, first 2 shown]
	v_fma_f16 v8, v59, -0.5, v8
	v_fma_f16 v59, v61, s15, v8
	v_fma_f16 v8, v61, s5, v8
	;; [unrolled: 1-line block ×5, first 2 shown]
	v_add_f16_e32 v55, v4, v5
	v_fma_f16 v46, v61, s18, v46
	v_add_f16_e32 v55, v55, v56
	v_fma_f16 v46, v67, s14, v46
	v_sub_f16_e32 v67, v45, v94
	v_sub_f16_e32 v69, v95, v96
	v_add_f16_e32 v55, v55, v47
	v_add_f16_e32 v67, v67, v69
	;; [unrolled: 1-line block ×4, first 2 shown]
	v_fma_f16 v151, v67, s14, v59
	v_fma_f16 v55, v55, -0.5, v4
	v_sub_f16_e32 v59, v94, v96
	v_add_f16_e32 v44, v44, v45
	v_fma_f16 v8, v67, s14, v8
	v_fma_f16 v61, v59, s15, v55
	v_sub_f16_e32 v45, v45, v95
	v_sub_f16_e32 v67, v5, v56
	;; [unrolled: 1-line block ×3, first 2 shown]
	v_fma_f16 v55, v59, s5, v55
	v_add_f16_e32 v67, v67, v69
	v_fma_f16 v55, v45, s4, v55
	v_fma_f16 v154, v67, s14, v55
	v_add_f16_e32 v55, v5, v58
	v_fma_f16 v4, v55, -0.5, v4
	v_fma_f16 v61, v45, s18, v61
	v_fma_f16 v55, v45, s5, v4
	v_sub_f16_e32 v5, v56, v5
	v_sub_f16_e32 v47, v47, v58
	v_fma_f16 v4, v45, s15, v4
	v_add_f16_e32 v45, v99, v57
	v_fma_f16 v55, v59, s18, v55
	v_add_f16_e32 v5, v5, v47
	v_fma_f16 v45, v45, -0.5, v9
	v_sub_f16_e32 v56, v62, v102
	v_fma_f16 v153, v67, s14, v61
	v_fma_f16 v47, v5, s14, v55
	;; [unrolled: 1-line block ×4, first 2 shown]
	v_sub_f16_e32 v61, v100, v64
	v_sub_f16_e32 v58, v97, v99
	;; [unrolled: 1-line block ×3, first 2 shown]
	v_fma_f16 v45, v56, s15, v45
	v_fma_f16 v55, v61, s4, v55
	v_add_f16_e32 v58, v58, v59
	v_fma_f16 v45, v61, s18, v45
	v_fma_f16 v55, v58, s14, v55
	;; [unrolled: 1-line block ×3, first 2 shown]
	v_add_f16_e32 v45, v97, v101
	v_fma_f16 v4, v5, s14, v4
	v_add_f16_e32 v5, v9, v97
	v_fma_f16 v9, v45, -0.5, v9
	v_fma_f16 v45, v61, s15, v9
	v_sub_f16_e32 v59, v99, v97
	v_sub_f16_e32 v67, v57, v101
	v_fma_f16 v45, v56, s4, v45
	v_add_f16_e32 v67, v59, v67
	v_fma_f16 v59, v67, s14, v45
	v_fma_f16 v9, v61, s5, v9
	v_add_f16_e32 v45, v100, v64
	v_fma_f16 v9, v56, s18, v9
	v_fma_f16 v45, v45, -0.5, v98
	v_sub_f16_e32 v56, v97, v101
	v_add_f16_e32 v5, v5, v99
	v_fma_f16 v61, v67, s14, v9
	v_fma_f16 v67, v56, s15, v45
	v_sub_f16_e32 v69, v99, v57
	v_add_f16_e32 v5, v5, v57
	v_fma_f16 v57, v69, s18, v67
	v_sub_f16_e32 v67, v62, v100
	v_sub_f16_e32 v70, v102, v64
	v_fma_f16 v45, v56, s5, v45
	v_add_f16_e32 v67, v67, v70
	v_fma_f16 v45, v69, s4, v45
	v_add_f16_e32 v9, v98, v62
	v_fma_f16 v57, v67, s14, v57
	v_fma_f16 v67, v67, s14, v45
	v_add_f16_e32 v45, v62, v102
	v_add_f16_e32 v9, v9, v100
	v_fma_f16 v45, v45, -0.5, v98
	v_add_f16_e32 v9, v9, v64
	v_fma_f16 v70, v69, s5, v45
	v_sub_f16_e32 v62, v100, v62
	v_sub_f16_e32 v64, v64, v102
	v_fma_f16 v45, v69, s15, v45
	v_add_f16_e32 v62, v62, v64
	v_fma_f16 v45, v56, s4, v45
	v_fma_f16 v71, v62, s14, v45
	v_add_f16_e32 v45, v6, v109
	v_add_f16_e32 v45, v45, v104
	;; [unrolled: 1-line block ×5, first 2 shown]
	v_fma_f16 v70, v56, s18, v70
	v_fma_f16 v45, v45, -0.5, v6
	v_sub_f16_e32 v56, v63, v107
	v_fma_f16 v90, v62, s14, v70
	v_fma_f16 v62, v56, s5, v45
	v_sub_f16_e32 v64, v40, v65
	v_sub_f16_e32 v70, v109, v104
	;; [unrolled: 1-line block ×3, first 2 shown]
	v_fma_f16 v45, v56, s15, v45
	v_fma_f16 v62, v64, s4, v62
	v_add_f16_e32 v70, v70, v91
	v_fma_f16 v45, v64, s18, v45
	v_fma_f16 v91, v70, s14, v62
	;; [unrolled: 1-line block ×3, first 2 shown]
	v_add_f16_e32 v45, v109, v106
	v_fma_f16 v6, v45, -0.5, v6
	v_add_f16_e32 v38, v38, v93
	v_fma_f16 v45, v64, s15, v6
	v_sub_f16_e32 v62, v104, v109
	v_sub_f16_e32 v93, v105, v106
	v_fma_f16 v6, v64, s5, v6
	v_add_f16_e32 v62, v62, v93
	v_fma_f16 v6, v56, s18, v6
	v_fma_f16 v93, v62, s14, v6
	v_add_f16_e32 v6, v103, v63
	v_add_f16_e32 v6, v6, v40
	;; [unrolled: 1-line block ×4, first 2 shown]
	v_fma_f16 v45, v56, s4, v45
	v_add_f16_e32 v95, v6, v107
	v_add_f16_e32 v6, v40, v65
	v_fma_f16 v94, v62, s14, v45
	v_fma_f16 v6, v6, -0.5, v103
	v_sub_f16_e32 v45, v109, v106
	v_add_f16_e32 v44, v44, v96
	v_fma_f16 v56, v45, s15, v6
	v_sub_f16_e32 v62, v104, v105
	v_sub_f16_e32 v64, v63, v40
	;; [unrolled: 1-line block ×3, first 2 shown]
	v_fma_f16 v6, v45, s5, v6
	v_add_f16_e32 v64, v64, v96
	v_fma_f16 v6, v62, s4, v6
	v_fma_f16 v96, v64, s14, v6
	v_add_f16_e32 v6, v63, v107
	v_fma_f16 v56, v62, s18, v56
	v_fma_f16 v6, v6, -0.5, v103
	v_fma_f16 v97, v64, s14, v56
	v_fma_f16 v56, v62, s5, v6
	v_sub_f16_e32 v40, v40, v63
	v_sub_f16_e32 v63, v65, v107
	v_fma_f16 v6, v62, s15, v6
	v_add_f16_e32 v40, v40, v63
	v_fma_f16 v6, v45, s4, v6
	s_movk_i32 s4, 0x8c
	v_fma_f16 v98, v40, s14, v6
	v_mad_legacy_u16 v6, v13, s4, v15
	v_fma_f16 v10, v143, s14, v10
	v_lshlrev_b32_e32 v143, 2, v6
	v_pack_b32_f16 v6, v110, v134
	v_pack_b32_f16 v13, v111, v108
	ds_write2_b32 v143, v6, v13 offset1:28
	v_pack_b32_f16 v6, v144, v41
	v_pack_b32_f16 v7, v10, v7
	ds_write2_b32 v143, v6, v7 offset0:56 offset1:84
	v_pack_b32_f16 v6, v135, v145
	ds_write_b32 v143, v6 offset:448
	v_mad_legacy_u16 v6, v37, s4, v66
	v_lshlrev_b32_e32 v144, 2, v6
	v_pack_b32_f16 v6, v38, v148
	v_pack_b32_f16 v7, v146, v92
	ds_write2_b32 v144, v6, v7 offset1:28
	v_pack_b32_f16 v6, v147, v43
	v_pack_b32_f16 v7, v11, v39
	ds_write2_b32 v144, v6, v7 offset0:56 offset1:84
	v_pack_b32_f16 v6, v42, v149
	ds_write_b32 v144, v6 offset:448
	v_mad_legacy_u16 v6, v72, s4, v73
	v_lshlrev_b32_e32 v145, 2, v6
	v_pack_b32_f16 v6, v44, v152
	v_pack_b32_f16 v7, v150, v153
	ds_write2_b32 v145, v6, v7 offset1:28
	v_pack_b32_f16 v6, v151, v47
	v_pack_b32_f16 v4, v8, v4
	ds_write2_b32 v145, v6, v4 offset0:56 offset1:84
	v_pack_b32_f16 v4, v46, v154
	v_add_f16_e32 v5, v5, v101
	v_add_f16_e32 v9, v9, v102
	ds_write_b32 v145, v4 offset:448
	v_mad_legacy_u16 v4, v74, s4, v76
	v_lshlrev_b32_e32 v146, 2, v4
	v_pack_b32_f16 v4, v5, v9
	v_pack_b32_f16 v5, v55, v57
	ds_write2_b32 v146, v4, v5 offset1:28
	v_pack_b32_f16 v4, v59, v90
	v_pack_b32_f16 v5, v61, v71
	ds_write2_b32 v146, v4, v5 offset0:56 offset1:84
	v_pack_b32_f16 v4, v58, v67
	v_fma_f16 v56, v45, s18, v56
	ds_write_b32 v146, v4 offset:448
	v_mad_legacy_u16 v4, v77, s4, v78
	v_fma_f16 v99, v40, s14, v56
	v_lshlrev_b32_e32 v147, 2, v4
	v_pack_b32_f16 v4, v69, v95
	v_pack_b32_f16 v5, v91, v97
	ds_write2_b32 v147, v4, v5 offset1:28
	v_pack_b32_f16 v4, v94, v99
	v_pack_b32_f16 v5, v93, v98
	ds_write2_b32 v147, v4, v5 offset0:56 offset1:84
	v_pack_b32_f16 v4, v70, v96
	ds_write_b32 v147, v4 offset:448
	s_waitcnt lgkmcnt(0)
	s_barrier
	ds_read_b32 v154, v82 offset:2800
	ds_read_b32 v153, v82 offset:5600
	;; [unrolled: 1-line block ×14, first 2 shown]
	ds_read_b32 v92, v82
	ds_read_b32 v100, v82 offset:42000
	s_movk_i32 s4, 0xfc
	v_lshlrev_b32_e32 v56, 2, v14
	v_lshlrev_b32_e32 v64, 2, v36
	v_cmp_gt_u16_e64 s[4:5], s4, v84
                                        ; implicit-def: $vgpr103
                                        ; implicit-def: $vgpr106
                                        ; implicit-def: $vgpr109
                                        ; implicit-def: $vgpr148
	s_and_saveexec_b64 s[14:15], s[4:5]
	s_cbranch_execz .LBB0_13
; %bb.12:
	ds_read_b32 v55, v82 offset:1792
	ds_read_b32 v59, v82 offset:4592
	;; [unrolled: 1-line block ×16, first 2 shown]
	s_waitcnt lgkmcnt(14)
	v_lshrrev_b32_e32 v57, 16, v55
	v_lshrrev_b32_e32 v90, 16, v59
	s_waitcnt lgkmcnt(13)
	v_lshrrev_b32_e32 v71, 16, v61
	s_waitcnt lgkmcnt(12)
	v_lshrrev_b32_e32 v67, 16, v58
	s_waitcnt lgkmcnt(7)
	v_lshrrev_b32_e32 v95, 16, v69
	s_waitcnt lgkmcnt(6)
	v_lshrrev_b32_e32 v97, 16, v91
	s_waitcnt lgkmcnt(5)
	v_lshrrev_b32_e32 v99, 16, v94
	s_waitcnt lgkmcnt(4)
	v_lshrrev_b32_e32 v98, 16, v93
	s_waitcnt lgkmcnt(3)
	v_lshrrev_b32_e32 v96, 16, v70
	s_waitcnt lgkmcnt(2)
	v_lshrrev_b32_e32 v54, 16, v50
	s_waitcnt lgkmcnt(1)
	v_lshrrev_b32_e32 v53, 16, v49
	s_waitcnt lgkmcnt(0)
	v_lshrrev_b32_e32 v51, 16, v48
	v_lshrrev_b32_e32 v158, 16, v148
	v_lshrrev_b32_e32 v157, 16, v109
	v_lshrrev_b32_e32 v156, 16, v106
	v_lshrrev_b32_e32 v155, 16, v103
.LBB0_13:
	s_or_b64 exec, exec, s[14:15]
	v_mul_u32_u24_e32 v4, 0xea0f, v84
	v_lshrrev_b32_e32 v65, 23, v4
	v_mul_lo_u16_e32 v4, 0x8c, v65
	v_sub_u16_e32 v66, v84, v4
	v_mul_lo_u16_e32 v62, 60, v66
	v_mov_b32_e32 v63, 0
	v_lshl_add_u64 v[4:5], s[0:1], 0, v[62:63]
	s_mov_b32 s14, 0xea0f
	global_load_dwordx4 v[36:39], v[4:5], off offset:544
	global_load_dwordx4 v[40:43], v[4:5], off offset:560
	;; [unrolled: 1-line block ×3, first 2 shown]
	global_load_dwordx3 v[76:78], v[4:5], off offset:592
	v_mul_u32_u24_sdwa v4, v12, s14 dst_sel:DWORD dst_unused:UNUSED_PAD src0_sel:WORD_0 src1_sel:DWORD
	v_lshrrev_b32_e32 v134, 23, v4
	v_mul_lo_u16_e32 v4, 0x8c, v134
	v_sub_u16_e32 v135, v12, v4
	v_mul_lo_u16_e32 v62, 60, v135
	v_lshl_add_u64 v[72:73], s[0:1], 0, v[62:63]
	global_load_dwordx4 v[4:7], v[72:73], off offset:544
	global_load_dwordx4 v[8:11], v[72:73], off offset:560
	;; [unrolled: 1-line block ×3, first 2 shown]
	s_nop 0
	global_load_dwordx3 v[72:74], v[72:73], off offset:592
	s_waitcnt lgkmcnt(14)
	v_lshrrev_b32_e32 v159, 16, v154
	s_waitcnt lgkmcnt(3)
	v_lshrrev_b32_e32 v171, 16, v102
	;; [unrolled: 2-line block ×4, first 2 shown]
	v_lshrrev_b32_e32 v160, 16, v153
	v_lshrrev_b32_e32 v162, 16, v151
	;; [unrolled: 1-line block ×12, first 2 shown]
	s_mov_b32 s14, 0xb9a8
	s_movk_i32 s15, 0x39a8
	s_mov_b32 s18, 0xbb64
	s_mov_b32 s19, 0xb61f
	s_movk_i32 s20, 0x361f
	s_movk_i32 s21, 0x3b64
	s_barrier
	s_waitcnt vmcnt(7)
	v_mul_f16_sdwa v174, v159, v36 dst_sel:DWORD dst_unused:UNUSED_PAD src0_sel:DWORD src1_sel:WORD_1
	v_mul_f16_sdwa v175, v154, v36 dst_sel:DWORD dst_unused:UNUSED_PAD src0_sel:DWORD src1_sel:WORD_1
	v_fma_f16 v154, v154, v36, -v174
	s_waitcnt vmcnt(4)
	v_mul_f16_sdwa v198, v171, v76 dst_sel:DWORD dst_unused:UNUSED_PAD src0_sel:DWORD src1_sel:WORD_1
	v_fma_f16 v174, v102, v76, -v198
	v_mul_f16_sdwa v102, v102, v76 dst_sel:DWORD dst_unused:UNUSED_PAD src0_sel:DWORD src1_sel:WORD_1
	v_fma_f16 v102, v171, v76, v102
	v_mul_f16_sdwa v171, v172, v77 dst_sel:DWORD dst_unused:UNUSED_PAD src0_sel:DWORD src1_sel:WORD_1
	v_fma_f16 v171, v101, v77, -v171
	v_mul_f16_sdwa v101, v101, v77 dst_sel:DWORD dst_unused:UNUSED_PAD src0_sel:DWORD src1_sel:WORD_1
	v_fma_f16 v101, v172, v77, v101
	v_mul_f16_sdwa v172, v173, v78 dst_sel:DWORD dst_unused:UNUSED_PAD src0_sel:DWORD src1_sel:WORD_1
	v_fma_f16 v172, v100, v78, -v172
	v_mul_f16_sdwa v100, v100, v78 dst_sel:DWORD dst_unused:UNUSED_PAD src0_sel:DWORD src1_sel:WORD_1
	v_fma_f16 v100, v173, v78, v100
	s_waitcnt vmcnt(3)
	v_mul_f16_sdwa v173, v90, v4 dst_sel:DWORD dst_unused:UNUSED_PAD src0_sel:DWORD src1_sel:WORD_1
	v_fma_f16 v173, v59, v4, -v173
	v_mul_f16_sdwa v59, v59, v4 dst_sel:DWORD dst_unused:UNUSED_PAD src0_sel:DWORD src1_sel:WORD_1
	v_fma_f16 v59, v90, v4, v59
	v_mul_f16_sdwa v90, v71, v5 dst_sel:DWORD dst_unused:UNUSED_PAD src0_sel:DWORD src1_sel:WORD_1
	v_fma_f16 v90, v61, v5, -v90
	v_mul_f16_sdwa v61, v61, v5 dst_sel:DWORD dst_unused:UNUSED_PAD src0_sel:DWORD src1_sel:WORD_1
	v_fma_f16 v61, v71, v5, v61
	v_mul_f16_sdwa v71, v67, v6 dst_sel:DWORD dst_unused:UNUSED_PAD src0_sel:DWORD src1_sel:WORD_1
	v_fma_f16 v71, v58, v6, -v71
	v_mul_f16_sdwa v58, v58, v6 dst_sel:DWORD dst_unused:UNUSED_PAD src0_sel:DWORD src1_sel:WORD_1
	v_fma_f16 v58, v67, v6, v58
	v_mul_f16_sdwa v67, v95, v7 dst_sel:DWORD dst_unused:UNUSED_PAD src0_sel:DWORD src1_sel:WORD_1
	v_fma_f16 v67, v69, v7, -v67
	v_mul_f16_sdwa v69, v69, v7 dst_sel:DWORD dst_unused:UNUSED_PAD src0_sel:DWORD src1_sel:WORD_1
	v_fma_f16 v69, v95, v7, v69
	s_waitcnt vmcnt(2)
	v_mul_f16_sdwa v95, v97, v8 dst_sel:DWORD dst_unused:UNUSED_PAD src0_sel:DWORD src1_sel:WORD_1
	v_fma_f16 v95, v91, v8, -v95
	v_mul_f16_sdwa v91, v91, v8 dst_sel:DWORD dst_unused:UNUSED_PAD src0_sel:DWORD src1_sel:WORD_1
	v_fma_f16 v91, v97, v8, v91
	;; [unrolled: 17-line block ×4, first 2 shown]
	v_mul_f16_sdwa v157, v156, v73 dst_sel:DWORD dst_unused:UNUSED_PAD src0_sel:DWORD src1_sel:WORD_1
	v_fma_f16 v157, v106, v73, -v157
	v_mul_f16_sdwa v106, v106, v73 dst_sel:DWORD dst_unused:UNUSED_PAD src0_sel:DWORD src1_sel:WORD_1
	v_mul_f16_sdwa v176, v160, v37 dst_sel:DWORD dst_unused:UNUSED_PAD src0_sel:DWORD src1_sel:WORD_1
	;; [unrolled: 1-line block ×13, first 2 shown]
	v_fma_f16 v106, v156, v73, v106
	v_mul_f16_sdwa v156, v155, v74 dst_sel:DWORD dst_unused:UNUSED_PAD src0_sel:DWORD src1_sel:WORD_1
	v_mul_f16_sdwa v179, v152, v38 dst_sel:DWORD dst_unused:UNUSED_PAD src0_sel:DWORD src1_sel:WORD_1
	v_mul_f16_sdwa v183, v150, v40 dst_sel:DWORD dst_unused:UNUSED_PAD src0_sel:DWORD src1_sel:WORD_1
	v_mul_f16_sdwa v187, v111, v42 dst_sel:DWORD dst_unused:UNUSED_PAD src0_sel:DWORD src1_sel:WORD_1
	v_mul_f16_sdwa v191, v108, v44 dst_sel:DWORD dst_unused:UNUSED_PAD src0_sel:DWORD src1_sel:WORD_1
	v_mul_f16_sdwa v195, v105, v46 dst_sel:DWORD dst_unused:UNUSED_PAD src0_sel:DWORD src1_sel:WORD_1
	v_fma_f16 v153, v153, v37, -v176
	v_fma_f16 v160, v160, v37, v177
	v_fma_f16 v151, v151, v39, -v180
	v_fma_f16 v162, v162, v39, v181
	;; [unrolled: 2-line block ×6, first 2 shown]
	v_fma_f16 v156, v103, v74, -v156
	v_mul_f16_sdwa v103, v103, v74 dst_sel:DWORD dst_unused:UNUSED_PAD src0_sel:DWORD src1_sel:WORD_1
	v_mul_f16_sdwa v178, v161, v38 dst_sel:DWORD dst_unused:UNUSED_PAD src0_sel:DWORD src1_sel:WORD_1
	;; [unrolled: 1-line block ×6, first 2 shown]
	v_fma_f16 v159, v159, v36, v175
	v_fma_f16 v161, v161, v38, v179
	;; [unrolled: 1-line block ×7, first 2 shown]
	v_sub_f16_e32 v110, v92, v110
	v_sub_f16_e32 v155, v62, v166
	;; [unrolled: 1-line block ×8, first 2 shown]
	v_fma_f16 v152, v152, v38, -v178
	v_fma_f16 v150, v150, v40, -v182
	;; [unrolled: 1-line block ×5, first 2 shown]
	v_fma_f16 v151, v151, 2.0, -v104
	v_fma_f16 v162, v162, 2.0, -v166
	;; [unrolled: 1-line block ×4, first 2 shown]
	v_sub_f16_e32 v167, v159, v167
	v_sub_f16_e32 v102, v163, v102
	v_sub_f16_e32 v169, v161, v169
	v_sub_f16_e32 v100, v165, v100
	v_sub_f16_e32 v166, v110, v166
	v_add_f16_e32 v104, v155, v104
	v_sub_f16_e32 v101, v107, v101
	v_add_f16_e32 v170, v168, v170
	v_fma_f16 v92, v92, 2.0, -v110
	v_fma_f16 v62, v62, 2.0, -v155
	;; [unrolled: 1-line block ×4, first 2 shown]
	v_sub_f16_e32 v108, v154, v108
	v_fma_f16 v159, v159, 2.0, -v167
	v_sub_f16_e32 v171, v150, v174
	v_fma_f16 v163, v163, 2.0, -v102
	;; [unrolled: 2-line block ×4, first 2 shown]
	v_fma_f16 v110, v110, 2.0, -v166
	v_fma_f16 v155, v155, 2.0, -v104
	;; [unrolled: 1-line block ×8, first 2 shown]
	v_sub_f16_e32 v162, v62, v162
	v_sub_f16_e32 v164, v160, v164
	;; [unrolled: 1-line block ×4, first 2 shown]
	v_add_f16_e32 v171, v167, v171
	v_sub_f16_e32 v165, v161, v165
	v_sub_f16_e32 v100, v105, v100
	v_add_f16_e32 v172, v169, v172
	v_fma_f16 v174, v107, s14, v110
	v_fma_f16 v175, v168, s14, v155
	v_sub_f16_e32 v151, v92, v151
	v_fma_f16 v62, v62, 2.0, -v162
	v_sub_f16_e32 v149, v153, v149
	v_fma_f16 v160, v160, 2.0, -v164
	;; [unrolled: 2-line block ×3, first 2 shown]
	v_fma_f16 v108, v108, 2.0, -v102
	v_fma_f16 v167, v167, 2.0, -v171
	v_sub_f16_e32 v111, v152, v111
	v_fma_f16 v161, v161, 2.0, -v165
	v_fma_f16 v105, v105, 2.0, -v100
	v_fma_f16 v169, v169, 2.0, -v172
	v_fma_f16 v168, v168, s14, v174
	v_fma_f16 v107, v107, s15, v175
	;; [unrolled: 1-line block ×4, first 2 shown]
	v_fma_f16 v92, v92, 2.0, -v151
	v_fma_f16 v153, v153, 2.0, -v149
	;; [unrolled: 1-line block ×4, first 2 shown]
	v_sub_f16_e32 v160, v62, v160
	v_fma_f16 v170, v170, s14, v174
	v_fma_f16 v101, v101, s15, v175
	v_sub_f16_e32 v161, v159, v161
	v_fma_f16 v174, v105, s14, v108
	v_fma_f16 v175, v169, s14, v167
	v_sub_f16_e32 v153, v92, v153
	v_fma_f16 v62, v62, 2.0, -v160
	v_sub_f16_e32 v152, v154, v152
	v_fma_f16 v159, v159, 2.0, -v161
	v_fma_f16 v169, v169, s14, v174
	v_fma_f16 v105, v105, s15, v175
	;; [unrolled: 1-line block ×3, first 2 shown]
	v_fma_f16 v92, v92, 2.0, -v153
	v_fma_f16 v110, v110, 2.0, -v168
	v_sub_f16_e32 v164, v151, v164
	v_fma_f16 v154, v154, 2.0, -v152
	v_fma_f16 v108, v108, 2.0, -v169
	v_sub_f16_e32 v165, v150, v165
	v_fma_f16 v174, v100, s15, v102
	v_fma_f16 v100, v100, s15, v175
	v_sub_f16_e32 v175, v62, v159
	v_fma_f16 v155, v155, 2.0, -v107
	v_add_f16_e32 v149, v162, v149
	v_fma_f16 v151, v151, 2.0, -v164
	v_fma_f16 v167, v167, 2.0, -v105
	v_add_f16_e32 v111, v163, v111
	v_fma_f16 v150, v150, 2.0, -v165
	v_fma_f16 v172, v172, s14, v174
	v_sub_f16_e32 v174, v92, v154
	v_fma_f16 v177, v62, 2.0, -v175
	v_fma_f16 v62, v108, s18, v110
	v_fma_f16 v162, v162, 2.0, -v149
	v_fma_f16 v166, v166, 2.0, -v170
	;; [unrolled: 1-line block ×5, first 2 shown]
	v_fma_f16 v92, v167, s18, v155
	v_fma_f16 v167, v167, s19, v62
	v_fma_f16 v62, v150, s14, v151
	v_fma_f16 v104, v104, 2.0, -v101
	v_fma_f16 v171, v171, 2.0, -v100
	v_fma_f16 v108, v108, s20, v92
	v_fma_f16 v92, v163, s14, v162
	;; [unrolled: 1-line block ×19, first 2 shown]
	v_sub_f16_e32 v62, v55, v98
	v_sub_f16_e32 v51, v67, v51
	;; [unrolled: 1-line block ×3, first 2 shown]
	v_add_f16_e32 v183, v160, v152
	v_fma_f16 v172, v172, s20, v92
	v_sub_f16_e32 v70, v57, v70
	v_fma_f16 v55, v55, 2.0, -v62
	v_sub_f16_e32 v92, v69, v148
	v_fma_f16 v67, v67, 2.0, -v51
	v_sub_f16_e32 v54, v90, v54
	v_sub_f16_e32 v148, v97, v157
	;; [unrolled: 1-line block ×4, first 2 shown]
	v_fma_f16 v184, v153, 2.0, -v182
	v_fma_f16 v186, v149, 2.0, -v165
	;; [unrolled: 1-line block ×4, first 2 shown]
	v_sub_f16_e32 v98, v61, v49
	v_fma_f16 v90, v90, 2.0, -v54
	v_sub_f16_e32 v106, v94, v106
	v_fma_f16 v97, v97, 2.0, -v148
	v_sub_f16_e32 v96, v173, v96
	v_sub_f16_e32 v149, v59, v50
	;; [unrolled: 1-line block ×4, first 2 shown]
	v_fma_f16 v71, v71, 2.0, -v53
	v_fma_f16 v99, v99, 2.0, -v152
	v_sub_f16_e32 v67, v55, v67
	v_sub_f16_e32 v153, v62, v92
	v_fma_f16 v180, v151, 2.0, -v163
	v_fma_f16 v61, v61, 2.0, -v98
	;; [unrolled: 1-line block ×7, first 2 shown]
	v_sub_f16_e32 v151, v58, v48
	v_sub_f16_e32 v103, v93, v103
	;; [unrolled: 1-line block ×3, first 2 shown]
	v_fma_f16 v49, v55, 2.0, -v67
	v_add_f16_e32 v154, v70, v51
	v_fma_f16 v55, v62, 2.0, -v153
	v_sub_f16_e32 v62, v90, v97
	v_add_f16_e32 v92, v98, v148
	v_sub_f16_e32 v99, v71, v99
	v_fma_f16 v178, v155, 2.0, -v108
	v_fma_f16 v58, v58, 2.0, -v151
	;; [unrolled: 1-line block ×5, first 2 shown]
	v_sub_f16_e32 v70, v61, v94
	v_sub_f16_e32 v94, v54, v106
	v_fma_f16 v98, v98, 2.0, -v92
	v_sub_f16_e32 v95, v50, v95
	v_sub_f16_e32 v106, v59, v91
	;; [unrolled: 1-line block ×3, first 2 shown]
	v_add_f16_e32 v148, v149, v150
	v_fma_f16 v155, v71, 2.0, -v99
	v_sub_f16_e32 v103, v53, v103
	v_add_f16_e32 v152, v151, v152
	v_add_f16_e32 v71, v69, v62
	v_fma_f16 v90, v90, 2.0, -v62
	v_fma_f16 v61, v61, 2.0, -v70
	;; [unrolled: 1-line block ×7, first 2 shown]
	v_sub_f16_e32 v150, v58, v93
	v_fma_f16 v157, v53, 2.0, -v103
	v_fma_f16 v151, v151, 2.0, -v152
	v_fma_f16 v59, v98, s14, v57
	v_sub_f16_e32 v70, v67, v70
	v_fma_f16 v62, v69, 2.0, -v71
	v_fma_f16 v69, v92, s15, v154
	v_fma_f16 v156, v58, 2.0, -v150
	v_sub_f16_e32 v53, v48, v61
	v_fma_f16 v58, v97, s14, v55
	v_fma_f16 v59, v97, s15, v59
	v_fma_f16 v61, v67, 2.0, -v70
	v_fma_f16 v67, v94, s15, v153
	v_fma_f16 v93, v94, s15, v69
	;; [unrolled: 1-line block ×7, first 2 shown]
	v_fma_f16 v55, v55, 2.0, -v58
	v_fma_f16 v92, v92, s14, v67
	v_fma_f16 v96, v96, 2.0, -v94
	v_fma_f16 v98, v149, 2.0, -v97
	v_add_f16_e32 v99, v106, v99
	v_fma_f16 v149, v103, s15, v109
	v_sub_f16_e32 v54, v49, v90
	v_fma_f16 v57, v57, 2.0, -v59
	v_fma_f16 v90, v153, 2.0, -v92
	v_sub_f16_e32 v151, v95, v150
	v_fma_f16 v106, v106, 2.0, -v99
	v_fma_f16 v150, v152, s15, v148
	v_fma_f16 v153, v152, s14, v149
	;; [unrolled: 1-line block ×3, first 2 shown]
	v_fma_f16 v95, v95, 2.0, -v151
	v_fma_f16 v103, v103, s15, v150
	v_fma_f16 v109, v109, 2.0, -v153
	v_fma_f16 v150, v98, s18, v57
	v_fma_f16 v157, v98, s19, v149
	;; [unrolled: 1-line block ×3, first 2 shown]
	v_fma_f16 v91, v154, 2.0, -v93
	v_fma_f16 v148, v148, 2.0, -v103
	v_fma_f16 v158, v96, s20, v150
	v_fma_f16 v96, v95, s14, v61
	v_fma_f16 v161, v95, s15, v98
	v_fma_f16 v95, v109, s19, v90
	v_fma_f16 v185, v160, 2.0, -v183
	v_fma_f16 v159, v106, s14, v96
	v_fma_f16 v96, v148, s19, v91
	v_fma_f16 v160, v148, s18, v95
	v_fma_f16 v95, v94, s20, v58
	;; [unrolled: 5-line block ×3, first 2 shown]
	s_movk_i32 s18, 0x8c0
	v_fma_f16 v110, v110, 2.0, -v167
	v_sub_f16_e32 v67, v50, v156
	v_fma_f16 v152, v94, s21, v96
	v_fma_f16 v94, v151, s15, v70
	v_fma_f16 v156, v151, s15, v95
	v_fma_f16 v95, v103, s21, v93
	v_mad_legacy_u16 v65, v65, s18, v66
	v_fma_f16 v166, v166, 2.0, -v171
	v_fma_f16 v104, v104, 2.0, -v102
	v_sub_f16_e32 v69, v51, v155
	v_fma_f16 v155, v99, s14, v94
	v_fma_f16 v94, v153, s21, v92
	;; [unrolled: 1-line block ×3, first 2 shown]
	v_lshlrev_b32_e32 v153, 2, v65
	v_pack_b32_f16 v65, v176, v177
	v_pack_b32_f16 v66, v110, v178
	v_fma_f16 v168, v168, 2.0, -v105
	v_fma_f16 v107, v107, 2.0, -v169
	v_fma_f16 v151, v103, s19, v94
	ds_write2_b32 v153, v65, v66 offset1:140
	v_pack_b32_f16 v65, v180, v181
	v_pack_b32_f16 v66, v166, v104
	v_add_u32_e32 v94, 0x400, v153
	v_fma_f16 v164, v164, 2.0, -v111
	v_fma_f16 v170, v170, 2.0, -v100
	;; [unrolled: 1-line block ×3, first 2 shown]
	ds_write2_b32 v94, v65, v66 offset0:24 offset1:164
	v_pack_b32_f16 v65, v184, v185
	v_pack_b32_f16 v66, v168, v107
	v_add_u32_e32 v94, 0x800, v153
	ds_write2_b32 v94, v65, v66 offset0:48 offset1:188
	v_pack_b32_f16 v65, v164, v186
	v_pack_b32_f16 v66, v170, v101
	v_add_u32_e32 v94, 0xc00, v153
	;; [unrolled: 4-line block ×5, first 2 shown]
	v_sub_f16_e32 v148, v54, v67
	v_add_f16_e32 v150, v53, v69
	ds_write2_b32 v94, v65, v66 offset0:16 offset1:156
	v_pack_b32_f16 v65, v111, v165
	v_pack_b32_f16 v66, v100, v172
	v_add_u32_e32 v94, 0x1e00, v153
	ds_write2_b32 v94, v65, v66 offset0:40 offset1:180
	s_and_saveexec_b64 s[14:15], s[4:5]
	s_cbranch_execz .LBB0_15
; %bb.14:
	v_fma_f16 v49, v49, 2.0, -v54
	v_fma_f16 v51, v51, 2.0, -v69
	;; [unrolled: 1-line block ×4, first 2 shown]
	v_sub_f16_e32 v51, v49, v51
	v_sub_f16_e32 v50, v48, v50
	v_fma_f16 v66, v93, 2.0, -v154
	v_fma_f16 v93, v53, 2.0, -v150
	v_fma_f16 v55, v55, 2.0, -v157
	v_fma_f16 v57, v57, 2.0, -v158
	v_fma_f16 v49, v49, 2.0, -v51
	v_fma_f16 v48, v48, 2.0, -v50
	v_mad_legacy_u16 v53, v134, s18, v135
	v_fma_f16 v90, v90, 2.0, -v160
	v_fma_f16 v91, v91, 2.0, -v162
	;; [unrolled: 1-line block ×4, first 2 shown]
	v_lshlrev_b32_e32 v53, 2, v53
	v_pack_b32_f16 v48, v49, v48
	v_pack_b32_f16 v49, v55, v57
	v_fma_f16 v65, v92, 2.0, -v151
	v_fma_f16 v58, v58, 2.0, -v149
	;; [unrolled: 1-line block ×4, first 2 shown]
	ds_write2_b32 v53, v48, v49 offset1:140
	v_pack_b32_f16 v48, v61, v62
	v_pack_b32_f16 v49, v90, v91
	v_add_u32_e32 v54, 0x400, v53
	v_fma_f16 v70, v70, 2.0, -v155
	v_fma_f16 v71, v71, 2.0, -v156
	ds_write2_b32 v54, v48, v49 offset0:24 offset1:164
	v_pack_b32_f16 v48, v92, v93
	v_pack_b32_f16 v49, v58, v59
	v_add_u32_e32 v54, 0x800, v53
	ds_write2_b32 v54, v48, v49 offset0:48 offset1:188
	v_pack_b32_f16 v48, v70, v71
	v_pack_b32_f16 v49, v65, v66
	v_add_u32_e32 v54, 0xc00, v53
	s_mov_b32 s18, 0x5040100
	ds_write2_b32 v54, v48, v49 offset0:72 offset1:212
	v_pack_b32_f16 v48, v51, v50
	v_perm_b32 v49, v158, v157, s18
	v_add_u32_e32 v50, 0x1000, v53
	ds_write2_b32 v50, v48, v49 offset0:96 offset1:236
	v_perm_b32 v48, v161, v159, s18
	v_perm_b32 v49, v162, v160, s18
	v_add_u32_e32 v50, 0x1500, v53
	ds_write2_b32 v50, v48, v49 offset0:56 offset1:196
	v_perm_b32 v48, v150, v148, s18
	;; [unrolled: 4-line block ×3, first 2 shown]
	v_perm_b32 v49, v154, v151, s18
	v_add_u32_e32 v50, 0x1e00, v53
	ds_write2_b32 v50, v48, v49 offset0:40 offset1:180
.LBB0_15:
	s_or_b64 exec, exec, s[14:15]
	v_lshlrev_b32_e32 v62, 2, v60
	v_lshl_add_u64 v[48:49], s[0:1], 0, v[62:63]
	s_movk_i32 s14, 0x2000
	v_add_co_u32_e32 v48, vcc, s14, v48
	s_waitcnt lgkmcnt(0)
	s_nop 0
	v_addc_co_u32_e32 v49, vcc, 0, v49, vcc
	s_barrier
	global_load_dwordx4 v[48:51], v[48:49], off offset:752
	v_lshlrev_b32_e32 v62, 2, v52
	v_lshl_add_u64 v[52:53], s[0:1], 0, v[62:63]
	v_add_co_u32_e32 v52, vcc, s14, v52
	v_lshlrev_b32_e32 v62, 2, v56
	s_nop 0
	v_addc_co_u32_e32 v53, vcc, 0, v53, vcc
	global_load_dwordx4 v[52:55], v[52:53], off offset:752
	v_lshl_add_u64 v[56:57], s[0:1], 0, v[62:63]
	v_add_co_u32_e32 v56, vcc, s14, v56
	ds_read2st64_b32 v[94:95], v82 offset1:7
	ds_read2st64_b32 v[90:91], v82 offset0:28 offset1:35
	ds_read2st64_b32 v[96:97], v82 offset0:70 offset1:77
	;; [unrolled: 1-line block ×5, first 2 shown]
	v_addc_co_u32_e32 v57, vcc, 0, v57, vcc
	global_load_dwordx4 v[56:59], v[56:57], off offset:752
	v_mov_b32_e32 v61, v63
	v_lshlrev_b32_e32 v62, 2, v64
	v_lshl_add_u64 v[70:71], s[16:17], 0, v[60:61]
	v_lshl_add_u64 v[60:61], s[0:1], 0, v[62:63]
	v_add_co_u32_e32 v60, vcc, s14, v60
	ds_read2st64_b32 v[104:105], v82 offset0:112 offset1:119
	ds_read2st64_b32 v[92:93], v82 offset0:14 offset1:21
	;; [unrolled: 1-line block ×6, first 2 shown]
	ds_read_b32 v163, v82 offset:43008
	v_addc_co_u32_e32 v61, vcc, 0, v61, vcc
	global_load_dwordx4 v[64:67], v[60:61], off offset:752
	v_mov_b32_e32 v69, v63
	v_lshl_add_u64 v[60:61], s[0:1], 0, v[68:69]
	v_add_co_u32_e32 v60, vcc, s14, v60
	s_waitcnt lgkmcnt(11)
	v_lshrrev_b32_e32 v166, 16, v91
	v_addc_co_u32_e32 v61, vcc, 0, v61, vcc
	global_load_dwordx4 v[60:63], v[60:61], off offset:752
	s_waitcnt lgkmcnt(10)
	v_lshrrev_b32_e32 v167, 16, v96
	s_waitcnt lgkmcnt(9)
	v_lshrrev_b32_e32 v168, 16, v99
	s_waitcnt lgkmcnt(8)
	v_lshrrev_b32_e32 v169, 16, v100
	s_waitcnt lgkmcnt(7)
	v_lshrrev_b32_e32 v171, 16, v102
	v_lshrrev_b32_e32 v172, 16, v97
	s_waitcnt lgkmcnt(6)
	v_lshrrev_b32_e32 v173, 16, v104
	v_lshrrev_b32_e32 v174, 16, v101
	;; [unrolled: 1-line block ×3, first 2 shown]
	s_waitcnt lgkmcnt(4)
	v_lshrrev_b32_e32 v177, 16, v106
	v_lshrrev_b32_e32 v178, 16, v105
	s_waitcnt lgkmcnt(3)
	v_lshrrev_b32_e32 v179, 16, v108
	s_waitcnt lgkmcnt(2)
	v_lshrrev_b32_e32 v181, 16, v110
	v_lshrrev_b32_e32 v182, 16, v107
	s_waitcnt lgkmcnt(1)
	v_lshrrev_b32_e32 v183, 16, v164
	v_lshrrev_b32_e32 v184, 16, v109
	;; [unrolled: 1-line block ×5, first 2 shown]
	s_waitcnt lgkmcnt(0)
	v_lshrrev_b32_e32 v189, 16, v163
	s_movk_i32 s1, 0x3b9c
	s_mov_b32 s15, 0xbb9c
	s_movk_i32 s0, 0x38b4
	s_mov_b32 s16, 0xb8b4
	s_movk_i32 s14, 0x34f2
	v_lshrrev_b32_e32 v69, 16, v94
	v_lshrrev_b32_e32 v170, 16, v95
	;; [unrolled: 1-line block ×5, first 2 shown]
	s_waitcnt vmcnt(4)
	v_mul_f16_sdwa v190, v166, v48 dst_sel:DWORD dst_unused:UNUSED_PAD src0_sel:DWORD src1_sel:WORD_1
	v_mul_f16_sdwa v192, v167, v49 dst_sel:DWORD dst_unused:UNUSED_PAD src0_sel:DWORD src1_sel:WORD_1
	;; [unrolled: 1-line block ×3, first 2 shown]
	v_fma_f16 v91, v91, v48, -v190
	v_fma_f16 v190, v96, v49, -v192
	v_mul_f16_sdwa v96, v96, v49 dst_sel:DWORD dst_unused:UNUSED_PAD src0_sel:DWORD src1_sel:WORD_1
	v_fma_f16 v96, v167, v49, v96
	v_mul_f16_sdwa v167, v168, v50 dst_sel:DWORD dst_unused:UNUSED_PAD src0_sel:DWORD src1_sel:WORD_1
	v_fma_f16 v167, v99, v50, -v167
	v_mul_f16_sdwa v99, v99, v50 dst_sel:DWORD dst_unused:UNUSED_PAD src0_sel:DWORD src1_sel:WORD_1
	v_fma_f16 v99, v168, v50, v99
	v_mul_f16_sdwa v168, v169, v51 dst_sel:DWORD dst_unused:UNUSED_PAD src0_sel:DWORD src1_sel:WORD_1
	v_fma_f16 v168, v100, v51, -v168
	v_mul_f16_sdwa v100, v100, v51 dst_sel:DWORD dst_unused:UNUSED_PAD src0_sel:DWORD src1_sel:WORD_1
	v_fma_f16 v100, v169, v51, v100
	s_waitcnt vmcnt(3)
	v_mul_f16_sdwa v169, v171, v52 dst_sel:DWORD dst_unused:UNUSED_PAD src0_sel:DWORD src1_sel:WORD_1
	v_fma_f16 v169, v102, v52, -v169
	v_mul_f16_sdwa v102, v102, v52 dst_sel:DWORD dst_unused:UNUSED_PAD src0_sel:DWORD src1_sel:WORD_1
	v_fma_f16 v102, v171, v52, v102
	v_mul_f16_sdwa v171, v172, v53 dst_sel:DWORD dst_unused:UNUSED_PAD src0_sel:DWORD src1_sel:WORD_1
	v_fma_f16 v171, v97, v53, -v171
	v_mul_f16_sdwa v97, v97, v53 dst_sel:DWORD dst_unused:UNUSED_PAD src0_sel:DWORD src1_sel:WORD_1
	v_fma_f16 v97, v172, v53, v97
	v_mul_f16_sdwa v172, v173, v54 dst_sel:DWORD dst_unused:UNUSED_PAD src0_sel:DWORD src1_sel:WORD_1
	v_fma_f16 v172, v104, v54, -v172
	v_mul_f16_sdwa v104, v104, v54 dst_sel:DWORD dst_unused:UNUSED_PAD src0_sel:DWORD src1_sel:WORD_1
	v_fma_f16 v104, v173, v54, v104
	v_mul_f16_sdwa v173, v174, v55 dst_sel:DWORD dst_unused:UNUSED_PAD src0_sel:DWORD src1_sel:WORD_1
	v_fma_f16 v173, v101, v55, -v173
	v_mul_f16_sdwa v101, v101, v55 dst_sel:DWORD dst_unused:UNUSED_PAD src0_sel:DWORD src1_sel:WORD_1
	v_fma_f16 v101, v174, v55, v101
	s_waitcnt vmcnt(2)
	v_mul_f16_sdwa v174, v176, v56 dst_sel:DWORD dst_unused:UNUSED_PAD src0_sel:DWORD src1_sel:WORD_1
	v_fma_f16 v174, v103, v56, -v174
	v_mul_f16_sdwa v103, v103, v56 dst_sel:DWORD dst_unused:UNUSED_PAD src0_sel:DWORD src1_sel:WORD_1
	v_fma_f16 v103, v176, v56, v103
	v_mul_f16_sdwa v176, v177, v57 dst_sel:DWORD dst_unused:UNUSED_PAD src0_sel:DWORD src1_sel:WORD_1
	;; [unrolled: 17-line block ×4, first 2 shown]
	v_fma_f16 v186, v98, v61, -v186
	v_mul_f16_sdwa v98, v98, v61 dst_sel:DWORD dst_unused:UNUSED_PAD src0_sel:DWORD src1_sel:WORD_1
	v_fma_f16 v98, v187, v61, v98
	v_mul_f16_sdwa v187, v188, v62 dst_sel:DWORD dst_unused:UNUSED_PAD src0_sel:DWORD src1_sel:WORD_1
	v_fma_f16 v187, v165, v62, -v187
	v_mul_f16_sdwa v165, v165, v62 dst_sel:DWORD dst_unused:UNUSED_PAD src0_sel:DWORD src1_sel:WORD_1
	v_fma_f16 v165, v188, v62, v165
	v_mul_f16_sdwa v188, v189, v63 dst_sel:DWORD dst_unused:UNUSED_PAD src0_sel:DWORD src1_sel:WORD_1
	v_fma_f16 v188, v163, v63, -v188
	v_mul_f16_sdwa v163, v163, v63 dst_sel:DWORD dst_unused:UNUSED_PAD src0_sel:DWORD src1_sel:WORD_1
	v_fma_f16 v189, v189, v63, v163
	v_add_f16_e32 v163, v94, v91
	v_add_f16_e32 v163, v163, v190
	;; [unrolled: 1-line block ×3, first 2 shown]
	v_fma_f16 v166, v166, v48, v191
	v_add_f16_e32 v191, v163, v168
	v_add_f16_e32 v163, v190, v167
	v_fma_f16 v163, v163, -0.5, v94
	v_sub_f16_e32 v192, v166, v100
	v_fma_f16 v193, v192, s1, v163
	v_sub_f16_e32 v194, v96, v99
	v_sub_f16_e32 v195, v91, v190
	;; [unrolled: 1-line block ×3, first 2 shown]
	v_fma_f16 v163, v192, s15, v163
	v_fma_f16 v193, v194, s0, v193
	v_add_f16_e32 v195, v195, v196
	v_fma_f16 v163, v194, s16, v163
	v_fma_f16 v193, v195, s14, v193
	;; [unrolled: 1-line block ×3, first 2 shown]
	v_add_f16_e32 v163, v91, v168
	v_fma_f16 v94, v163, -0.5, v94
	v_fma_f16 v163, v194, s15, v94
	v_sub_f16_e32 v196, v190, v91
	v_sub_f16_e32 v197, v167, v168
	v_fma_f16 v163, v192, s0, v163
	v_add_f16_e32 v196, v196, v197
	v_fma_f16 v197, v196, s14, v163
	v_add_f16_e32 v163, v69, v166
	v_add_f16_e32 v163, v163, v96
	v_fma_f16 v94, v194, s1, v94
	v_add_f16_e32 v163, v163, v99
	v_fma_f16 v94, v192, s16, v94
	v_add_f16_e32 v192, v163, v100
	v_add_f16_e32 v163, v96, v99
	v_fma_f16 v163, v163, -0.5, v69
	v_sub_f16_e32 v91, v91, v168
	v_fma_f16 v168, v91, s15, v163
	v_sub_f16_e32 v167, v190, v167
	v_sub_f16_e32 v190, v166, v96
	;; [unrolled: 1-line block ×3, first 2 shown]
	v_fma_f16 v163, v91, s1, v163
	v_fma_f16 v168, v167, s16, v168
	v_add_f16_e32 v190, v190, v194
	v_fma_f16 v163, v167, s0, v163
	v_fma_f16 v168, v190, s14, v168
	;; [unrolled: 1-line block ×3, first 2 shown]
	v_add_f16_e32 v163, v166, v100
	v_fma_f16 v69, v163, -0.5, v69
	v_fma_f16 v163, v167, s1, v69
	v_sub_f16_e32 v96, v96, v166
	v_sub_f16_e32 v99, v99, v100
	v_fma_f16 v69, v167, s15, v69
	v_add_f16_e32 v96, v96, v99
	v_fma_f16 v69, v91, s0, v69
	v_fma_f16 v163, v91, s16, v163
	;; [unrolled: 1-line block ×3, first 2 shown]
	v_add_f16_e32 v69, v95, v169
	v_add_f16_e32 v69, v69, v171
	v_add_f16_e32 v69, v69, v172
	v_fma_f16 v99, v96, s14, v163
	v_add_f16_e32 v96, v69, v173
	v_add_f16_e32 v69, v171, v172
	v_fma_f16 v69, v69, -0.5, v95
	v_sub_f16_e32 v100, v102, v101
	v_fma_f16 v163, v100, s1, v69
	v_sub_f16_e32 v166, v97, v104
	v_sub_f16_e32 v167, v169, v171
	;; [unrolled: 1-line block ×3, first 2 shown]
	v_fma_f16 v69, v100, s15, v69
	v_fma_f16 v163, v166, s0, v163
	v_add_f16_e32 v167, v167, v194
	v_fma_f16 v69, v166, s16, v69
	v_fma_f16 v194, v167, s14, v163
	;; [unrolled: 1-line block ×3, first 2 shown]
	v_add_f16_e32 v69, v169, v173
	v_fma_f16 v69, v69, -0.5, v95
	v_fma_f16 v94, v196, s14, v94
	v_fma_f16 v95, v166, s15, v69
	v_sub_f16_e32 v163, v171, v169
	v_sub_f16_e32 v196, v172, v173
	v_fma_f16 v69, v166, s1, v69
	v_add_f16_e32 v163, v163, v196
	v_fma_f16 v69, v100, s16, v69
	v_fma_f16 v95, v100, s0, v95
	v_fma_f16 v100, v163, s14, v69
	v_add_f16_e32 v69, v170, v102
	v_add_f16_e32 v69, v69, v97
	v_add_f16_e32 v69, v69, v104
	v_add_f16_e32 v166, v69, v101
	v_add_f16_e32 v69, v97, v104
	v_fma_f16 v95, v163, s14, v95
	v_fma_f16 v69, v69, -0.5, v170
	v_sub_f16_e32 v163, v169, v173
	v_fma_f16 v169, v163, s15, v69
	v_sub_f16_e32 v171, v171, v172
	v_sub_f16_e32 v172, v102, v97
	v_sub_f16_e32 v173, v101, v104
	v_fma_f16 v69, v163, s1, v69
	v_fma_f16 v169, v171, s16, v169
	v_add_f16_e32 v172, v172, v173
	v_fma_f16 v69, v171, s0, v69
	v_fma_f16 v169, v172, s14, v169
	v_fma_f16 v172, v172, s14, v69
	v_add_f16_e32 v69, v102, v101
	v_fma_f16 v69, v69, -0.5, v170
	v_fma_f16 v170, v171, s1, v69
	v_sub_f16_e32 v97, v97, v102
	v_sub_f16_e32 v101, v104, v101
	v_fma_f16 v69, v171, s15, v69
	v_fma_f16 v170, v163, s16, v170
	v_add_f16_e32 v97, v97, v101
	v_fma_f16 v69, v163, s0, v69
	v_fma_f16 v101, v97, s14, v170
	v_fma_f16 v97, v97, s14, v69
	v_add_f16_e32 v69, v92, v174
	v_add_f16_e32 v69, v69, v176
	v_add_f16_e32 v69, v69, v177
	v_add_f16_e32 v102, v69, v178
	v_add_f16_e32 v69, v176, v177
	v_fma_f16 v69, v69, -0.5, v92
	v_sub_f16_e32 v104, v103, v108
	v_fma_f16 v163, v104, s1, v69
	v_sub_f16_e32 v170, v106, v105
	v_sub_f16_e32 v171, v174, v176
	v_sub_f16_e32 v173, v178, v177
	v_fma_f16 v69, v104, s15, v69
	v_fma_f16 v163, v170, s0, v163
	v_add_f16_e32 v171, v171, v173
	v_fma_f16 v69, v170, s16, v69
	v_fma_f16 v173, v171, s14, v163
	v_fma_f16 v171, v171, s14, v69
	v_add_f16_e32 v69, v174, v178
	v_fma_f16 v69, v69, -0.5, v92
	v_fma_f16 v92, v170, s15, v69
	v_sub_f16_e32 v163, v176, v174
	v_sub_f16_e32 v196, v177, v178
	v_fma_f16 v69, v170, s1, v69
	v_add_f16_e32 v163, v163, v196
	v_fma_f16 v69, v104, s16, v69
	v_fma_f16 v92, v104, s0, v92
	v_fma_f16 v104, v163, s14, v69
	v_add_f16_e32 v69, v175, v103
	v_add_f16_e32 v69, v69, v106
	v_add_f16_e32 v69, v69, v105
	v_add_f16_e32 v170, v69, v108
	v_add_f16_e32 v69, v106, v105
	v_fma_f16 v92, v163, s14, v92
	v_fma_f16 v69, v69, -0.5, v175
	v_sub_f16_e32 v163, v174, v178
	v_fma_f16 v174, v163, s15, v69
	v_sub_f16_e32 v176, v176, v177
	v_sub_f16_e32 v177, v103, v106
	v_sub_f16_e32 v178, v108, v105
	v_fma_f16 v69, v163, s1, v69
	v_fma_f16 v174, v176, s16, v174
	v_add_f16_e32 v177, v177, v178
	v_fma_f16 v69, v176, s0, v69
	v_fma_f16 v174, v177, s14, v174
	v_fma_f16 v177, v177, s14, v69
	v_add_f16_e32 v69, v103, v108
	v_fma_f16 v69, v69, -0.5, v175
	v_fma_f16 v175, v176, s1, v69
	v_sub_f16_e32 v103, v106, v103
	v_sub_f16_e32 v105, v105, v108
	v_fma_f16 v69, v176, s15, v69
	v_fma_f16 v175, v163, s16, v175
	v_add_f16_e32 v103, v103, v105
	v_fma_f16 v69, v163, s0, v69
	v_fma_f16 v105, v103, s14, v175
	v_fma_f16 v103, v103, s14, v69
	v_add_f16_e32 v69, v93, v179
	v_add_f16_e32 v69, v69, v181
	v_add_f16_e32 v69, v69, v182
	v_add_f16_e32 v106, v69, v183
	v_add_f16_e32 v69, v181, v182
	v_fma_f16 v69, v69, -0.5, v93
	v_sub_f16_e32 v108, v110, v109
	v_fma_f16 v163, v108, s1, v69
	v_sub_f16_e32 v175, v107, v164
	v_sub_f16_e32 v176, v179, v181
	v_sub_f16_e32 v178, v183, v182
	v_fma_f16 v69, v108, s15, v69
	v_fma_f16 v163, v175, s0, v163
	v_add_f16_e32 v176, v176, v178
	v_fma_f16 v69, v175, s16, v69
	v_fma_f16 v178, v176, s14, v163
	v_fma_f16 v176, v176, s14, v69
	v_add_f16_e32 v69, v179, v183
	v_fma_f16 v69, v69, -0.5, v93
	;; [unrolled: 56-line block ×3, first 2 shown]
	v_fma_f16 v181, v180, s15, v90
	v_fma_f16 v90, v180, s1, v90
	;; [unrolled: 1-line block ×4, first 2 shown]
	v_add_f16_e32 v163, v185, v111
	v_add_f16_e32 v163, v163, v98
	v_sub_f16_e32 v183, v186, v184
	v_sub_f16_e32 v196, v187, v188
	v_add_f16_e32 v163, v163, v165
	v_add_f16_e32 v183, v183, v196
	;; [unrolled: 1-line block ×4, first 2 shown]
	v_fma_f16 v181, v183, s14, v181
	v_fma_f16 v90, v183, s14, v90
	v_fma_f16 v163, v163, -0.5, v185
	v_sub_f16_e32 v183, v184, v188
	v_fma_f16 v184, v183, s15, v163
	v_sub_f16_e32 v186, v186, v187
	v_sub_f16_e32 v187, v111, v98
	v_sub_f16_e32 v188, v189, v165
	v_fma_f16 v163, v183, s1, v163
	v_fma_f16 v184, v186, s16, v184
	v_add_f16_e32 v187, v187, v188
	v_fma_f16 v163, v186, s0, v163
	v_fma_f16 v184, v187, s14, v184
	;; [unrolled: 1-line block ×3, first 2 shown]
	v_add_f16_e32 v187, v111, v189
	v_fma_f16 v185, v187, -0.5, v185
	v_fma_f16 v187, v186, s1, v185
	v_sub_f16_e32 v98, v98, v111
	v_sub_f16_e32 v111, v165, v189
	v_fma_f16 v165, v186, s15, v185
	v_pack_b32_f16 v91, v94, v91
	v_fma_f16 v187, v183, s16, v187
	v_add_f16_e32 v98, v98, v111
	v_fma_f16 v165, v183, s0, v165
	ds_write_b32 v82, v91 offset:26880
	v_pack_b32_f16 v91, v195, v190
	v_fma_f16 v111, v98, s14, v187
	v_fma_f16 v98, v98, s14, v165
	v_pack_b32_f16 v165, v191, v192
	v_pack_b32_f16 v168, v193, v168
	;; [unrolled: 1-line block ×3, first 2 shown]
	ds_write_b32 v82, v91 offset:35840
	v_pack_b32_f16 v91, v96, v166
	ds_write_b32 v82, v168 offset:8960
	ds_write_b32 v82, v99 offset:17920
	ds_write2st64_b32 v82, v165, v91 offset1:7
	v_pack_b32_f16 v91, v194, v169
	v_pack_b32_f16 v99, v173, v174
	;; [unrolled: 1-line block ×3, first 2 shown]
	ds_write2st64_b32 v82, v91, v99 offset0:42 offset1:49
	v_pack_b32_f16 v91, v92, v105
	v_pack_b32_f16 v95, v100, v97
	ds_write2st64_b32 v82, v94, v91 offset0:77 offset1:84
	v_pack_b32_f16 v91, v104, v103
	v_pack_b32_f16 v96, v167, v172
	;; [unrolled: 3-line block ×4, first 2 shown]
	ds_write2st64_b32 v82, v97, v91 offset0:14 offset1:21
	ds_write_b32 v82, v92 offset:23296
	v_pack_b32_f16 v92, v108, v107
	ds_write_b32 v82, v92 offset:32256
	v_pack_b32_f16 v92, v176, v182
	;; [unrolled: 2-line block ×3, first 2 shown]
	v_pack_b32_f16 v91, v178, v179
	ds_write_b32 v82, v92 offset:7168
	v_pack_b32_f16 v92, v164, v184
	v_pack_b32_f16 v90, v90, v98
	ds_write2st64_b32 v82, v91, v92 offset0:56 offset1:63
	ds_write_b32 v82, v90 offset:34048
	v_pack_b32_f16 v90, v69, v163
	s_mov_b32 s0, 0xa000
	v_pack_b32_f16 v91, v181, v111
	ds_write_b32 v82, v90 offset:43008
	v_add_co_u32_e32 v90, vcc, s0, v70
	ds_write_b32 v82, v91 offset:25088
	s_nop 0
	v_addc_co_u32_e32 v91, vcc, 0, v71, vcc
	s_waitcnt lgkmcnt(0)
	s_barrier
	global_load_dword v102, v[90:91], off offset:3840
	s_mov_b32 s0, 0xd000
	v_add_co_u32_e32 v92, vcc, s0, v70
	s_mov_b32 s0, 0x10000
	s_nop 0
	v_addc_co_u32_e32 v93, vcc, 0, v71, vcc
	global_load_dword v103, v[92:93], off offset:2752
	v_add_co_u32_e32 v94, vcc, s0, v70
	s_mov_b32 s0, 0x13000
	s_nop 0
	v_addc_co_u32_e32 v95, vcc, 0, v71, vcc
	global_load_dword v104, v[94:95], off offset:1664
	v_add_co_u32_e32 v96, vcc, s0, v70
	s_mov_b64 s[0:1], 0xaf00
	s_nop 0
	v_addc_co_u32_e32 v97, vcc, 0, v71, vcc
	global_load_dword v105, v[96:97], off offset:576
	v_lshl_add_u64 v[90:91], v[70:71], 0, s[0:1]
	global_load_dword v106, v[90:91], off offset:1792
	s_mov_b32 s0, 0xe000
	v_add_co_u32_e32 v98, vcc, s0, v70
	s_mov_b32 s0, 0x11000
	s_nop 0
	v_addc_co_u32_e32 v99, vcc, 0, v71, vcc
	global_load_dword v107, v[94:95], off offset:3456
	global_load_dword v108, v[98:99], off offset:448
	;; [unrolled: 1-line block ×3, first 2 shown]
	v_add_co_u32_e32 v94, vcc, s0, v70
	s_mov_b32 s0, 0x14000
	s_nop 0
	v_addc_co_u32_e32 v95, vcc, 0, v71, vcc
	v_add_co_u32_e32 v100, vcc, s0, v70
	v_add_u32_e32 v164, 0x80, v82
	s_nop 0
	v_addc_co_u32_e32 v101, vcc, 0, v71, vcc
	global_load_dword v110, v[100:101], off offset:1856
	global_load_dword v111, v[94:95], off offset:2944
	s_nop 0
	global_load_dword v99, v[98:99], off offset:4032
	s_nop 0
	global_load_dword v166, v[96:97], off offset:2368
	ds_read2st64_b32 v[96:97], v82 offset1:7
	global_load_dword v167, v[92:93], off offset:512
	global_load_dword v168, v[90:91], off offset:3584
	v_add_u32_e32 v165, 64, v82
	s_mov_b32 s0, 0xc000
	s_waitcnt lgkmcnt(0)
	v_lshrrev_b32_e32 v98, 16, v96
	s_waitcnt vmcnt(13)
	v_mul_f16_sdwa v92, v98, v102 dst_sel:DWORD dst_unused:UNUSED_PAD src0_sel:DWORD src1_sel:WORD_1
	v_mul_f16_sdwa v93, v96, v102 dst_sel:DWORD dst_unused:UNUSED_PAD src0_sel:DWORD src1_sel:WORD_1
	v_fma_f16 v92, v96, v102, -v92
	v_fma_f16 v93, v98, v102, v93
	v_pack_b32_f16 v92, v92, v93
	ds_write_b32 v82, v92
	v_add_u32_e32 v98, 0xc0, v82
	ds_read2st64_b32 v[92:93], v98 offset0:43 offset1:50
	global_load_dword v169, v[94:95], off offset:1152
	global_load_dword v170, v[100:101], off offset:64
	ds_read2st64_b32 v[94:95], v164 offset0:87 offset1:94
	s_waitcnt lgkmcnt(1)
	v_lshrrev_b32_e32 v96, 16, v92
	s_waitcnt vmcnt(14)
	v_mul_f16_sdwa v102, v96, v103 dst_sel:DWORD dst_unused:UNUSED_PAD src0_sel:DWORD src1_sel:WORD_1
	v_fma_f16 v102, v92, v103, -v102
	v_mul_f16_sdwa v92, v92, v103 dst_sel:DWORD dst_unused:UNUSED_PAD src0_sel:DWORD src1_sel:WORD_1
	v_fma_f16 v92, v96, v103, v92
	v_pack_b32_f16 v92, v102, v92
	ds_read2st64_b32 v[102:103], v165 offset0:131 offset1:138
	s_waitcnt lgkmcnt(1)
	v_lshrrev_b32_e32 v96, 16, v94
	s_waitcnt vmcnt(13)
	v_mul_f16_sdwa v171, v96, v104 dst_sel:DWORD dst_unused:UNUSED_PAD src0_sel:DWORD src1_sel:WORD_1
	v_fma_f16 v171, v94, v104, -v171
	v_mul_f16_sdwa v94, v94, v104 dst_sel:DWORD dst_unused:UNUSED_PAD src0_sel:DWORD src1_sel:WORD_1
	v_fma_f16 v94, v96, v104, v94
	s_waitcnt lgkmcnt(0)
	v_lshrrev_b32_e32 v96, 16, v102
	s_waitcnt vmcnt(12)
	v_mul_f16_sdwa v104, v96, v105 dst_sel:DWORD dst_unused:UNUSED_PAD src0_sel:DWORD src1_sel:WORD_1
	v_fma_f16 v104, v102, v105, -v104
	v_mul_f16_sdwa v102, v102, v105 dst_sel:DWORD dst_unused:UNUSED_PAD src0_sel:DWORD src1_sel:WORD_1
	v_fma_f16 v96, v96, v105, v102
	v_pack_b32_f16 v96, v104, v96
	v_add_co_u32_e32 v104, vcc, s0, v70
	v_pack_b32_f16 v94, v171, v94
	s_nop 0
	v_addc_co_u32_e32 v105, vcc, 0, v71, vcc
	global_load_dword v102, v[104:105], off offset:1024
	v_lshrrev_b32_e32 v171, 16, v97
	s_waitcnt vmcnt(12)
	v_mul_f16_sdwa v172, v171, v106 dst_sel:DWORD dst_unused:UNUSED_PAD src0_sel:DWORD src1_sel:WORD_1
	v_fma_f16 v172, v97, v106, -v172
	v_mul_f16_sdwa v97, v97, v106 dst_sel:DWORD dst_unused:UNUSED_PAD src0_sel:DWORD src1_sel:WORD_1
	v_fma_f16 v97, v171, v106, v97
	v_pack_b32_f16 v106, v172, v97
	v_lshrrev_b32_e32 v97, 16, v93
	s_waitcnt vmcnt(10)
	v_mul_f16_sdwa v171, v97, v108 dst_sel:DWORD dst_unused:UNUSED_PAD src0_sel:DWORD src1_sel:WORD_1
	v_fma_f16 v171, v93, v108, -v171
	v_mul_f16_sdwa v93, v93, v108 dst_sel:DWORD dst_unused:UNUSED_PAD src0_sel:DWORD src1_sel:WORD_1
	v_fma_f16 v93, v97, v108, v93
	v_pack_b32_f16 v93, v171, v93
	ds_write2st64_b32 v98, v92, v93 offset0:43 offset1:50
	v_lshrrev_b32_e32 v92, 16, v95
	v_mul_f16_sdwa v93, v92, v107 dst_sel:DWORD dst_unused:UNUSED_PAD src0_sel:DWORD src1_sel:WORD_1
	v_fma_f16 v93, v95, v107, -v93
	v_mul_f16_sdwa v95, v95, v107 dst_sel:DWORD dst_unused:UNUSED_PAD src0_sel:DWORD src1_sel:WORD_1
	v_fma_f16 v92, v92, v107, v95
	v_pack_b32_f16 v92, v93, v92
	ds_write2st64_b32 v164, v94, v92 offset0:87 offset1:94
	v_lshrrev_b32_e32 v92, 16, v103
	s_waitcnt vmcnt(5)
	v_mul_f16_sdwa v93, v92, v166 dst_sel:DWORD dst_unused:UNUSED_PAD src0_sel:DWORD src1_sel:WORD_1
	v_fma_f16 v93, v103, v166, -v93
	v_mul_f16_sdwa v94, v103, v166 dst_sel:DWORD dst_unused:UNUSED_PAD src0_sel:DWORD src1_sel:WORD_1
	global_load_dword v103, v[104:105], off offset:2816
	s_mov_b32 s0, 0xf000
	v_fma_f16 v92, v92, v166, v94
	v_add_co_u32_e32 v94, vcc, s0, v70
	v_pack_b32_f16 v92, v93, v92
	s_nop 0
	v_addc_co_u32_e32 v95, vcc, 0, v71, vcc
	global_load_dword v104, v[94:95], off offset:1728
	s_mov_b32 s0, 0x12000
	ds_write2st64_b32 v165, v96, v92 offset0:131 offset1:138
	v_add_co_u32_e32 v96, vcc, s0, v70
	ds_read2st64_b32 v[92:93], v82 offset0:14 offset1:21
	s_nop 0
	v_addc_co_u32_e32 v97, vcc, 0, v71, vcc
	global_load_dword v105, v[96:97], off offset:640
	v_add_co_u32_e32 v70, vcc, 0x15000, v70
	s_nop 1
	v_addc_co_u32_e32 v71, vcc, 0, v71, vcc
	global_load_dword v107, v[96:97], off offset:2432
	global_load_dword v108, v[70:71], off offset:1344
	;; [unrolled: 1-line block ×3, first 2 shown]
	s_nop 0
	global_load_dword v100, v[100:101], off offset:3648
	s_waitcnt lgkmcnt(0)
	v_lshrrev_b32_e32 v94, 16, v92
	s_waitcnt vmcnt(10)
	v_mul_f16_sdwa v70, v94, v168 dst_sel:DWORD dst_unused:UNUSED_PAD src0_sel:DWORD src1_sel:WORD_1
	v_fma_f16 v95, v92, v168, -v70
	ds_read2st64_b32 v[70:71], v98 offset0:57 offset1:64
	v_mul_f16_sdwa v92, v92, v168 dst_sel:DWORD dst_unused:UNUSED_PAD src0_sel:DWORD src1_sel:WORD_1
	v_fma_f16 v92, v94, v168, v92
	v_pack_b32_f16 v92, v95, v92
	ds_write2st64_b32 v82, v106, v92 offset0:7 offset1:14
	s_waitcnt lgkmcnt(1)
	v_lshrrev_b32_e32 v92, 16, v70
	v_mul_f16_sdwa v96, v92, v109 dst_sel:DWORD dst_unused:UNUSED_PAD src0_sel:DWORD src1_sel:WORD_1
	ds_read2st64_b32 v[94:95], v164 offset0:101 offset1:108
	v_fma_f16 v96, v70, v109, -v96
	v_mul_f16_sdwa v70, v70, v109 dst_sel:DWORD dst_unused:UNUSED_PAD src0_sel:DWORD src1_sel:WORD_1
	v_fma_f16 v70, v92, v109, v70
	v_pack_b32_f16 v70, v96, v70
	ds_read2st64_b32 v[96:97], v165 offset0:145 offset1:152
	s_waitcnt lgkmcnt(1)
	v_lshrrev_b32_e32 v92, 16, v94
	s_waitcnt vmcnt(9)
	v_mul_f16_sdwa v101, v92, v169 dst_sel:DWORD dst_unused:UNUSED_PAD src0_sel:DWORD src1_sel:WORD_1
	v_fma_f16 v101, v94, v169, -v101
	v_mul_f16_sdwa v94, v94, v169 dst_sel:DWORD dst_unused:UNUSED_PAD src0_sel:DWORD src1_sel:WORD_1
	v_fma_f16 v92, v92, v169, v94
	s_waitcnt lgkmcnt(0)
	v_lshrrev_b32_e32 v94, 16, v96
	v_pack_b32_f16 v92, v101, v92
	s_waitcnt vmcnt(8)
	v_mul_f16_sdwa v101, v94, v170 dst_sel:DWORD dst_unused:UNUSED_PAD src0_sel:DWORD src1_sel:WORD_1
	v_fma_f16 v101, v96, v170, -v101
	v_mul_f16_sdwa v96, v96, v170 dst_sel:DWORD dst_unused:UNUSED_PAD src0_sel:DWORD src1_sel:WORD_1
	v_fma_f16 v94, v94, v170, v96
	v_lshrrev_b32_e32 v96, 16, v93
	v_pack_b32_f16 v94, v101, v94
	s_waitcnt vmcnt(7)
	v_mul_f16_sdwa v101, v96, v102 dst_sel:DWORD dst_unused:UNUSED_PAD src0_sel:DWORD src1_sel:WORD_1
	v_fma_f16 v101, v93, v102, -v101
	v_mul_f16_sdwa v93, v93, v102 dst_sel:DWORD dst_unused:UNUSED_PAD src0_sel:DWORD src1_sel:WORD_1
	v_fma_f16 v93, v96, v102, v93
	v_pack_b32_f16 v96, v101, v93
	v_lshrrev_b32_e32 v93, 16, v71
	v_mul_f16_sdwa v101, v93, v99 dst_sel:DWORD dst_unused:UNUSED_PAD src0_sel:DWORD src1_sel:WORD_1
	v_fma_f16 v101, v71, v99, -v101
	v_mul_f16_sdwa v71, v71, v99 dst_sel:DWORD dst_unused:UNUSED_PAD src0_sel:DWORD src1_sel:WORD_1
	v_fma_f16 v71, v93, v99, v71
	v_pack_b32_f16 v71, v101, v71
	ds_write2st64_b32 v98, v70, v71 offset0:57 offset1:64
	v_lshrrev_b32_e32 v70, 16, v95
	v_mul_f16_sdwa v71, v70, v111 dst_sel:DWORD dst_unused:UNUSED_PAD src0_sel:DWORD src1_sel:WORD_1
	v_mul_f16_sdwa v93, v95, v111 dst_sel:DWORD dst_unused:UNUSED_PAD src0_sel:DWORD src1_sel:WORD_1
	v_fma_f16 v71, v95, v111, -v71
	v_fma_f16 v70, v70, v111, v93
	v_pack_b32_f16 v70, v71, v70
	ds_write2st64_b32 v164, v92, v70 offset0:101 offset1:108
	v_lshrrev_b32_e32 v92, 16, v97
	v_mul_f16_sdwa v70, v92, v110 dst_sel:DWORD dst_unused:UNUSED_PAD src0_sel:DWORD src1_sel:WORD_1
	v_fma_f16 v93, v97, v110, -v70
	ds_read2st64_b32 v[70:71], v82 offset0:28 offset1:35
	v_mul_f16_sdwa v95, v97, v110 dst_sel:DWORD dst_unused:UNUSED_PAD src0_sel:DWORD src1_sel:WORD_1
	v_fma_f16 v92, v92, v110, v95
	v_pack_b32_f16 v92, v93, v92
	ds_write2st64_b32 v165, v94, v92 offset0:145 offset1:152
	s_waitcnt lgkmcnt(1)
	v_lshrrev_b32_e32 v94, 16, v70
	s_waitcnt vmcnt(6)
	v_mul_f16_sdwa v92, v94, v103 dst_sel:DWORD dst_unused:UNUSED_PAD src0_sel:DWORD src1_sel:WORD_1
	v_fma_f16 v95, v70, v103, -v92
	ds_read2st64_b32 v[92:93], v98 offset0:71 offset1:78
	v_mul_f16_sdwa v70, v70, v103 dst_sel:DWORD dst_unused:UNUSED_PAD src0_sel:DWORD src1_sel:WORD_1
	v_fma_f16 v70, v94, v103, v70
	v_pack_b32_f16 v70, v95, v70
	ds_write2st64_b32 v82, v96, v70 offset0:21 offset1:28
	s_waitcnt lgkmcnt(1)
	v_lshrrev_b32_e32 v70, 16, v92
	s_waitcnt vmcnt(5)
	v_mul_f16_sdwa v96, v70, v104 dst_sel:DWORD dst_unused:UNUSED_PAD src0_sel:DWORD src1_sel:WORD_1
	ds_read2st64_b32 v[94:95], v164 offset0:115 offset1:122
	v_fma_f16 v96, v92, v104, -v96
	v_mul_f16_sdwa v92, v92, v104 dst_sel:DWORD dst_unused:UNUSED_PAD src0_sel:DWORD src1_sel:WORD_1
	v_fma_f16 v70, v70, v104, v92
	v_pack_b32_f16 v70, v96, v70
	ds_read2st64_b32 v[96:97], v165 offset0:159 offset1:166
	s_waitcnt lgkmcnt(1)
	v_lshrrev_b32_e32 v92, 16, v94
	s_waitcnt vmcnt(4)
	v_mul_f16_sdwa v99, v92, v105 dst_sel:DWORD dst_unused:UNUSED_PAD src0_sel:DWORD src1_sel:WORD_1
	v_fma_f16 v99, v94, v105, -v99
	v_mul_f16_sdwa v94, v94, v105 dst_sel:DWORD dst_unused:UNUSED_PAD src0_sel:DWORD src1_sel:WORD_1
	v_fma_f16 v92, v92, v105, v94
	s_waitcnt lgkmcnt(0)
	v_lshrrev_b32_e32 v94, 16, v96
	v_pack_b32_f16 v92, v99, v92
	s_waitcnt vmcnt(0)
	v_mul_f16_sdwa v99, v94, v100 dst_sel:DWORD dst_unused:UNUSED_PAD src0_sel:DWORD src1_sel:WORD_1
	v_fma_f16 v99, v96, v100, -v99
	v_mul_f16_sdwa v96, v96, v100 dst_sel:DWORD dst_unused:UNUSED_PAD src0_sel:DWORD src1_sel:WORD_1
	v_fma_f16 v94, v94, v100, v96
	v_lshrrev_b32_e32 v96, 16, v71
	v_pack_b32_f16 v94, v99, v94
	v_mul_f16_sdwa v99, v96, v167 dst_sel:DWORD dst_unused:UNUSED_PAD src0_sel:DWORD src1_sel:WORD_1
	v_fma_f16 v99, v71, v167, -v99
	v_mul_f16_sdwa v71, v71, v167 dst_sel:DWORD dst_unused:UNUSED_PAD src0_sel:DWORD src1_sel:WORD_1
	v_fma_f16 v71, v96, v167, v71
	v_pack_b32_f16 v71, v99, v71
	ds_write_b32 v82, v71 offset:8960
	v_lshrrev_b32_e32 v71, 16, v93
	v_mul_f16_sdwa v96, v71, v166 dst_sel:DWORD dst_unused:UNUSED_PAD src0_sel:DWORD src1_sel:WORD_1
	v_fma_f16 v96, v93, v166, -v96
	v_mul_f16_sdwa v93, v93, v166 dst_sel:DWORD dst_unused:UNUSED_PAD src0_sel:DWORD src1_sel:WORD_1
	v_fma_f16 v71, v71, v166, v93
	v_pack_b32_f16 v71, v96, v71
	ds_write2st64_b32 v98, v70, v71 offset0:71 offset1:78
	v_lshrrev_b32_e32 v70, 16, v95
	v_mul_f16_sdwa v71, v70, v107 dst_sel:DWORD dst_unused:UNUSED_PAD src0_sel:DWORD src1_sel:WORD_1
	v_mul_f16_sdwa v93, v95, v107 dst_sel:DWORD dst_unused:UNUSED_PAD src0_sel:DWORD src1_sel:WORD_1
	v_fma_f16 v71, v95, v107, -v71
	v_fma_f16 v70, v70, v107, v93
	v_pack_b32_f16 v70, v71, v70
	ds_write2st64_b32 v164, v92, v70 offset0:115 offset1:122
	v_lshrrev_b32_e32 v70, 16, v97
	v_mul_f16_sdwa v71, v70, v108 dst_sel:DWORD dst_unused:UNUSED_PAD src0_sel:DWORD src1_sel:WORD_1
	v_mul_f16_sdwa v92, v97, v108 dst_sel:DWORD dst_unused:UNUSED_PAD src0_sel:DWORD src1_sel:WORD_1
	v_fma_f16 v71, v97, v108, -v71
	v_fma_f16 v70, v70, v108, v92
	v_pack_b32_f16 v70, v71, v70
	ds_write2st64_b32 v165, v94, v70 offset0:159 offset1:166
	s_and_saveexec_b64 s[0:1], s[6:7]
	s_cbranch_execz .LBB0_17
; %bb.16:
	v_add_co_u32_e32 v70, vcc, 0x2000, v90
	s_nop 1
	v_addc_co_u32_e32 v71, vcc, 0, v91, vcc
	global_load_dword v92, v[70:71], off offset:2560
	v_add_co_u32_e32 v70, vcc, 0x5000, v90
	s_nop 1
	v_addc_co_u32_e32 v71, vcc, 0, v91, vcc
	global_load_dword v93, v[70:71], off offset:1472
	;; [unrolled: 4-line block ×4, first 2 shown]
	ds_read_b32 v71, v82 offset:10752
	ds_read_b32 v90, v82 offset:21952
	;; [unrolled: 1-line block ×4, first 2 shown]
	s_waitcnt lgkmcnt(3)
	v_lshrrev_b32_e32 v96, 16, v71
	s_waitcnt lgkmcnt(2)
	v_lshrrev_b32_e32 v97, 16, v90
	;; [unrolled: 2-line block ×4, first 2 shown]
	s_waitcnt vmcnt(3)
	v_mul_f16_sdwa v101, v96, v92 dst_sel:DWORD dst_unused:UNUSED_PAD src0_sel:DWORD src1_sel:WORD_1
	v_mul_f16_sdwa v102, v71, v92 dst_sel:DWORD dst_unused:UNUSED_PAD src0_sel:DWORD src1_sel:WORD_1
	v_fma_f16 v71, v71, v92, -v101
	v_fma_f16 v92, v96, v92, v102
	v_pack_b32_f16 v71, v71, v92
	ds_write_b32 v82, v71 offset:10752
	s_waitcnt vmcnt(2)
	v_mul_f16_sdwa v96, v97, v93 dst_sel:DWORD dst_unused:UNUSED_PAD src0_sel:DWORD src1_sel:WORD_1
	v_mul_f16_sdwa v101, v90, v93 dst_sel:DWORD dst_unused:UNUSED_PAD src0_sel:DWORD src1_sel:WORD_1
	v_fma_f16 v90, v90, v93, -v96
	v_fma_f16 v92, v97, v93, v101
	v_pack_b32_f16 v71, v90, v92
	ds_write_b32 v82, v71 offset:21952
	;; [unrolled: 7-line block ×4, first 2 shown]
.LBB0_17:
	s_or_b64 exec, exec, s[0:1]
	s_waitcnt lgkmcnt(0)
	s_barrier
	ds_read2st64_b32 v[104:105], v82 offset1:7
	ds_read2st64_b32 v[106:107], v98 offset0:43 offset1:50
	ds_read2st64_b32 v[108:109], v164 offset0:87 offset1:94
	;; [unrolled: 1-line block ×11, first 2 shown]
	v_add_u32_e32 v166, 0x8c00, v112
	s_and_saveexec_b64 s[0:1], s[6:7]
	s_cbranch_execz .LBB0_19
; %bb.18:
	ds_read_b32 v69, v82 offset:10752
	ds_read_b32 v157, v82 offset:21952
	;; [unrolled: 1-line block ×4, first 2 shown]
	s_waitcnt lgkmcnt(3)
	v_lshrrev_b32_e32 v163, 16, v69
	s_waitcnt lgkmcnt(2)
	v_lshrrev_b32_e32 v158, 16, v157
	;; [unrolled: 2-line block ×4, first 2 shown]
.LBB0_19:
	s_or_b64 exec, exec, s[0:1]
	s_waitcnt lgkmcnt(5)
	v_pk_add_f16 v177, v100, v94 neg_lo:[0,1] neg_hi:[0,1]
	s_waitcnt lgkmcnt(4)
	v_pk_add_f16 v178, v102, v96 neg_lo:[0,1] neg_hi:[0,1]
	v_lshrrev_b32_e32 v94, 16, v177
	v_sub_f16_e32 v180, v94, v178
	v_pk_add_f16 v183, v101, v95 neg_lo:[0,1] neg_hi:[0,1]
	v_pk_add_f16 v108, v104, v108 neg_lo:[0,1] neg_hi:[0,1]
	;; [unrolled: 1-line block ×3, first 2 shown]
	v_fma_f16 v182, v94, 2.0, -v180
	v_pk_add_f16 v184, v103, v97 neg_lo:[0,1] neg_hi:[0,1]
	v_lshrrev_b32_e32 v94, 16, v183
	s_waitcnt lgkmcnt(1)
	v_pk_add_f16 v189, v92, v70 neg_lo:[0,1] neg_hi:[0,1]
	v_pk_add_f16 v71, v93, v71 neg_lo:[0,1] neg_hi:[0,1]
	;; [unrolled: 1-line block ×3, first 2 shown]
	v_lshrrev_b32_e32 v164, 16, v108
	v_pk_add_f16 v172, v107, v111 neg_lo:[0,1] neg_hi:[0,1]
	v_lshrrev_b32_e32 v109, 16, v171
	v_sub_f16_e32 v186, v94, v184
	s_waitcnt lgkmcnt(0)
	v_pk_add_f16 v190, v98, v90 neg_lo:[0,1] neg_hi:[0,1]
	v_lshrrev_b32_e32 v70, 16, v189
	v_pk_add_f16 v90, v99, v91 neg_lo:[0,1] neg_hi:[0,1]
	v_pk_fma_f16 v91, v93, 2.0, v71 op_sel_hi:[1,0,1] neg_lo:[0,0,1] neg_hi:[0,0,1]
	v_lshrrev_b32_e32 v93, 16, v71
	v_sub_f16_e32 v168, v164, v110
	v_sub_f16_e32 v174, v109, v172
	v_fma_f16 v188, v94, 2.0, -v186
	v_sub_f16_e32 v192, v70, v190
	v_add_f16_sdwa v94, v71, v90 dst_sel:DWORD dst_unused:UNUSED_PAD src0_sel:DWORD src1_sel:WORD_1
	v_sub_f16_e32 v165, v93, v90
	v_fma_f16 v170, v164, 2.0, -v168
	v_fma_f16 v176, v109, 2.0, -v174
	;; [unrolled: 1-line block ×3, first 2 shown]
	v_pk_fma_f16 v70, v99, 2.0, v90 op_sel_hi:[1,0,1] neg_lo:[0,0,1] neg_hi:[0,0,1]
	v_fma_f16 v90, v71, 2.0, -v94
	v_fma_f16 v164, v93, 2.0, -v165
	v_sub_f16_e32 v71, v69, v159
	v_sub_f16_e32 v93, v163, v161
	;; [unrolled: 1-line block ×4, first 2 shown]
	v_fma_f16 v69, v69, 2.0, -v71
	v_fma_f16 v96, v163, 2.0, -v93
	v_fma_f16 v95, v157, 2.0, -v99
	v_fma_f16 v111, v158, 2.0, -v109
	v_sub_f16_e32 v97, v69, v95
	v_sub_f16_e32 v158, v96, v111
	v_add_f16_e32 v157, v109, v71
	v_fma_f16 v95, v69, 2.0, -v97
	v_fma_f16 v160, v96, 2.0, -v158
	;; [unrolled: 1-line block ×3, first 2 shown]
	v_pk_fma_f16 v69, v104, 2.0, v108 op_sel_hi:[1,0,1] neg_lo:[0,0,1] neg_hi:[0,0,1]
	v_pk_fma_f16 v71, v106, 2.0, v110 op_sel_hi:[1,0,1] neg_lo:[0,0,1] neg_hi:[0,0,1]
	v_add_f16_sdwa v167, v108, v110 dst_sel:DWORD dst_unused:UNUSED_PAD src0_sel:DWORD src1_sel:WORD_1
	v_pk_add_f16 v110, v69, v71 neg_lo:[0,1] neg_hi:[0,1]
	v_fma_f16 v169, v108, 2.0, -v167
	v_add_f16_sdwa v173, v171, v172 dst_sel:DWORD dst_unused:UNUSED_PAD src0_sel:DWORD src1_sel:WORD_1
	v_pk_fma_f16 v108, v69, 2.0, v110 op_sel_hi:[1,0,1] neg_lo:[0,0,1] neg_hi:[0,0,1]
	v_pk_fma_f16 v69, v105, 2.0, v171 op_sel_hi:[1,0,1] neg_lo:[0,0,1] neg_hi:[0,0,1]
	;; [unrolled: 1-line block ×3, first 2 shown]
	v_fma_f16 v175, v171, 2.0, -v173
	v_pk_add_f16 v106, v69, v71 neg_lo:[0,1] neg_hi:[0,1]
	v_pack_b32_f16 v111, v167, v168
	v_pack_b32_f16 v109, v169, v170
	v_pk_fma_f16 v104, v69, 2.0, v106 op_sel_hi:[1,0,1] neg_lo:[0,0,1] neg_hi:[0,0,1]
	v_pack_b32_f16 v107, v173, v174
	v_pack_b32_f16 v105, v175, v176
	v_pk_fma_f16 v69, v100, 2.0, v177 op_sel_hi:[1,0,1] neg_lo:[0,0,1] neg_hi:[0,0,1]
	v_pk_fma_f16 v71, v102, 2.0, v178 op_sel_hi:[1,0,1] neg_lo:[0,0,1] neg_hi:[0,0,1]
	s_barrier
	ds_write_b128 v112, v[108:111]
	ds_write_b128 v113, v[104:107]
	v_pk_add_f16 v106, v69, v71 neg_lo:[0,1] neg_hi:[0,1]
	v_add_f16_sdwa v179, v177, v178 dst_sel:DWORD dst_unused:UNUSED_PAD src0_sel:DWORD src1_sel:WORD_1
	v_add_f16_sdwa v185, v183, v184 dst_sel:DWORD dst_unused:UNUSED_PAD src0_sel:DWORD src1_sel:WORD_1
	v_pk_fma_f16 v104, v69, 2.0, v106 op_sel_hi:[1,0,1] neg_lo:[0,0,1] neg_hi:[0,0,1]
	v_pk_fma_f16 v69, v101, 2.0, v183 op_sel_hi:[1,0,1] neg_lo:[0,0,1] neg_hi:[0,0,1]
	;; [unrolled: 1-line block ×3, first 2 shown]
	v_fma_f16 v181, v177, 2.0, -v179
	v_fma_f16 v187, v183, 2.0, -v185
	v_pk_add_f16 v102, v69, v71 neg_lo:[0,1] neg_hi:[0,1]
	v_add_f16_sdwa v191, v189, v190 dst_sel:DWORD dst_unused:UNUSED_PAD src0_sel:DWORD src1_sel:WORD_1
	v_pack_b32_f16 v107, v179, v180
	v_pack_b32_f16 v105, v181, v182
	v_pk_fma_f16 v100, v69, 2.0, v102 op_sel_hi:[1,0,1] neg_lo:[0,0,1] neg_hi:[0,0,1]
	v_pack_b32_f16 v103, v185, v186
	v_pack_b32_f16 v101, v187, v188
	v_pk_fma_f16 v69, v92, 2.0, v189 op_sel_hi:[1,0,1] neg_lo:[0,0,1] neg_hi:[0,0,1]
	v_pk_fma_f16 v71, v98, 2.0, v190 op_sel_hi:[1,0,1] neg_lo:[0,0,1] neg_hi:[0,0,1]
	v_fma_f16 v193, v189, 2.0, -v191
	ds_write_b128 v136, v[104:107]
	ds_write_b128 v137, v[100:103]
	v_pk_add_f16 v100, v69, v71 neg_lo:[0,1] neg_hi:[0,1]
	v_pk_add_f16 v70, v91, v70 neg_lo:[0,1] neg_hi:[0,1]
	v_sub_f16_e32 v159, v93, v99
	v_pk_fma_f16 v98, v69, 2.0, v100 op_sel_hi:[1,0,1] neg_lo:[0,0,1] neg_hi:[0,0,1]
	v_pack_b32_f16 v101, v191, v192
	v_pack_b32_f16 v99, v193, v194
	v_fma_f16 v161, v93, 2.0, -v159
	ds_write_b128 v68, v[98:101]
	v_pk_fma_f16 v68, v91, 2.0, v70 op_sel_hi:[1,0,1] neg_lo:[0,0,1] neg_hi:[0,0,1]
	v_pack_b32_f16 v71, v94, v165
	v_pack_b32_f16 v69, v90, v164
	ds_write_b128 v166, v[68:71]
	s_and_saveexec_b64 s[0:1], s[6:7]
	s_cbranch_execz .LBB0_21
; %bb.20:
	s_mov_b32 s14, 0x5040100
	v_perm_b32 v101, v159, v157, s14
	v_perm_b32 v100, v158, v97, s14
	;; [unrolled: 1-line block ×4, first 2 shown]
	ds_write_b128 v138, v[98:101]
.LBB0_21:
	s_or_b64 exec, exec, s[0:1]
	s_waitcnt lgkmcnt(0)
	s_barrier
	ds_read2st64_b32 v[92:93], v82 offset1:7
	ds_read2st64_b32 v[68:69], v82 offset0:14 offset1:25
	ds_read2st64_b32 v[112:113], v82 offset0:50 offset1:57
	;; [unrolled: 1-line block ×9, first 2 shown]
	ds_read_b32 v71, v82 offset:41984
	s_and_saveexec_b64 s[0:1], s[2:3]
	s_cbranch_execz .LBB0_23
; %bb.22:
	ds_read2st64_b32 v[90:91], v82 offset0:21 offset1:46
	ds_read2st64_b32 v[94:95], v82 offset0:71 offset1:96
	;; [unrolled: 1-line block ×3, first 2 shown]
	ds_read_b32 v157, v82 offset:43776
	s_waitcnt lgkmcnt(3)
	v_lshrrev_b32_e32 v164, 16, v90
	s_waitcnt lgkmcnt(2)
	v_lshrrev_b32_e32 v165, 16, v94
	v_lshrrev_b32_e32 v160, 16, v95
	s_waitcnt lgkmcnt(1)
	v_lshrrev_b32_e32 v161, 16, v96
	v_lshrrev_b32_e32 v158, 16, v97
	s_waitcnt lgkmcnt(0)
	v_lshrrev_b32_e32 v159, 16, v157
	v_mov_b32_e32 v70, v91
.LBB0_23:
	s_or_b64 exec, exec, s[0:1]
	s_waitcnt lgkmcnt(9)
	v_lshrrev_b32_e32 v91, 16, v69
	v_mul_f16_sdwa v178, v0, v91 dst_sel:DWORD dst_unused:UNUSED_PAD src0_sel:WORD_1 src1_sel:DWORD
	s_waitcnt lgkmcnt(8)
	v_lshrrev_b32_e32 v136, 16, v112
	v_fma_f16 v178, v0, v69, v178
	v_mul_f16_sdwa v69, v0, v69 dst_sel:DWORD dst_unused:UNUSED_PAD src0_sel:WORD_1 src1_sel:DWORD
	v_fma_f16 v69, v0, v91, -v69
	v_mul_f16_sdwa v91, v1, v136 dst_sel:DWORD dst_unused:UNUSED_PAD src0_sel:WORD_1 src1_sel:DWORD
	s_waitcnt lgkmcnt(7)
	v_lshrrev_b32_e32 v137, 16, v101
	v_fma_f16 v91, v1, v112, v91
	v_mul_f16_sdwa v112, v1, v112 dst_sel:DWORD dst_unused:UNUSED_PAD src0_sel:WORD_1 src1_sel:DWORD
	v_fma_f16 v112, v1, v136, -v112
	;; [unrolled: 6-line block ×6, first 2 shown]
	v_mul_f16_sdwa v163, v0, v166 dst_sel:DWORD dst_unused:UNUSED_PAD src0_sel:WORD_1 src1_sel:DWORD
	v_lshrrev_b32_e32 v167, 16, v113
	v_fma_f16 v163, v0, v106, v163
	v_mul_f16_sdwa v106, v0, v106 dst_sel:DWORD dst_unused:UNUSED_PAD src0_sel:WORD_1 src1_sel:DWORD
	v_fma_f16 v106, v0, v166, -v106
	v_mul_f16_sdwa v166, v1, v167 dst_sel:DWORD dst_unused:UNUSED_PAD src0_sel:WORD_1 src1_sel:DWORD
	s_waitcnt lgkmcnt(2)
	v_lshrrev_b32_e32 v168, 16, v104
	v_fma_f16 v166, v1, v113, v166
	v_mul_f16_sdwa v113, v1, v113 dst_sel:DWORD dst_unused:UNUSED_PAD src0_sel:WORD_1 src1_sel:DWORD
	v_fma_f16 v113, v1, v167, -v113
	v_mul_f16_sdwa v167, v2, v168 dst_sel:DWORD dst_unused:UNUSED_PAD src0_sel:WORD_1 src1_sel:DWORD
	v_lshrrev_b32_e32 v169, 16, v111
	v_fma_f16 v167, v2, v104, v167
	v_mul_f16_sdwa v104, v2, v104 dst_sel:DWORD dst_unused:UNUSED_PAD src0_sel:WORD_1 src1_sel:DWORD
	v_fma_f16 v104, v2, v168, -v104
	v_mul_f16_sdwa v168, v3, v169 dst_sel:DWORD dst_unused:UNUSED_PAD src0_sel:WORD_1 src1_sel:DWORD
	s_waitcnt lgkmcnt(1)
	v_lshrrev_b32_e32 v170, 16, v102
	v_fma_f16 v168, v3, v111, v168
	v_mul_f16_sdwa v111, v3, v111 dst_sel:DWORD dst_unused:UNUSED_PAD src0_sel:WORD_1 src1_sel:DWORD
	v_fma_f16 v111, v3, v169, -v111
	v_mul_f16_sdwa v169, v88, v170 dst_sel:DWORD dst_unused:UNUSED_PAD src0_sel:WORD_1 src1_sel:DWORD
	v_lshrrev_b32_e32 v171, 16, v109
	v_fma_f16 v169, v88, v102, v169
	v_mul_f16_sdwa v102, v88, v102 dst_sel:DWORD dst_unused:UNUSED_PAD src0_sel:WORD_1 src1_sel:DWORD
	v_fma_f16 v102, v88, v170, -v102
	v_mul_f16_sdwa v170, v89, v171 dst_sel:DWORD dst_unused:UNUSED_PAD src0_sel:WORD_1 src1_sel:DWORD
	;; [unrolled: 5-line block ×7, first 2 shown]
	s_waitcnt lgkmcnt(0)
	v_lshrrev_b32_e32 v177, 16, v71
	v_fma_f16 v175, v88, v103, v175
	v_mul_f16_sdwa v103, v88, v103 dst_sel:DWORD dst_unused:UNUSED_PAD src0_sel:WORD_1 src1_sel:DWORD
	v_fma_f16 v103, v88, v176, -v103
	v_mul_f16_sdwa v176, v89, v177 dst_sel:DWORD dst_unused:UNUSED_PAD src0_sel:WORD_1 src1_sel:DWORD
	v_fma_f16 v176, v89, v71, v176
	v_mul_f16_sdwa v71, v89, v71 dst_sel:DWORD dst_unused:UNUSED_PAD src0_sel:WORD_1 src1_sel:DWORD
	v_fma_f16 v71, v89, v177, -v71
	v_lshrrev_b32_e32 v177, 16, v70
	v_mul_f16_sdwa v179, v0, v177 dst_sel:DWORD dst_unused:UNUSED_PAD src0_sel:WORD_1 src1_sel:DWORD
	v_fma_f16 v179, v0, v70, v179
	v_mul_f16_sdwa v70, v0, v70 dst_sel:DWORD dst_unused:UNUSED_PAD src0_sel:WORD_1 src1_sel:DWORD
	v_fma_f16 v0, v0, v177, -v70
	v_mul_f16_sdwa v70, v1, v165 dst_sel:DWORD dst_unused:UNUSED_PAD src0_sel:WORD_1 src1_sel:DWORD
	v_fma_f16 v70, v1, v94, v70
	v_mul_f16_sdwa v94, v1, v94 dst_sel:DWORD dst_unused:UNUSED_PAD src0_sel:WORD_1 src1_sel:DWORD
	v_fma_f16 v1, v1, v165, -v94
	;; [unrolled: 4-line block ×6, first 2 shown]
	v_add_f16_e32 v157, v178, v162
	v_add_f16_e32 v158, v69, v108
	v_sub_f16_e32 v69, v69, v108
	v_add_f16_e32 v108, v91, v138
	v_add_f16_e32 v160, v112, v99
	v_sub_f16_e32 v91, v91, v138
	v_sub_f16_e32 v99, v112, v99
	v_add_f16_e32 v112, v136, v137
	v_add_f16_e32 v138, v101, v110
	v_sub_f16_e32 v136, v137, v136
	;; [unrolled: 4-line block ×3, first 2 shown]
	v_sub_f16_e32 v161, v108, v157
	v_sub_f16_e32 v162, v160, v158
	;; [unrolled: 1-line block ×6, first 2 shown]
	v_add_f16_e32 v165, v136, v91
	v_add_f16_e32 v177, v101, v99
	v_sub_f16_e32 v178, v136, v91
	v_sub_f16_e32 v180, v101, v99
	;; [unrolled: 1-line block ×3, first 2 shown]
	v_add_f16_e32 v110, v112, v110
	v_add_f16_e32 v112, v138, v137
	v_sub_f16_e32 v136, v159, v136
	v_sub_f16_e32 v101, v69, v101
	;; [unrolled: 1-line block ×3, first 2 shown]
	v_add_f16_e32 v137, v165, v159
	v_add_f16_e32 v69, v177, v69
	;; [unrolled: 1-line block ×3, first 2 shown]
	v_add_f16_sdwa v159, v92, v112 dst_sel:DWORD dst_unused:UNUSED_PAD src0_sel:WORD_1 src1_sel:DWORD
	v_mul_f16_e32 v92, 0x3a52, v157
	v_mul_f16_e32 v157, 0x3a52, v158
	s_movk_i32 s1, 0x2b26
	v_mul_f16_e32 v158, 0x2b26, v108
	v_mul_f16_e32 v165, 0x2b26, v160
	;; [unrolled: 1-line block ×4, first 2 shown]
	s_mov_b32 s0, 0xbb00
	v_mul_f16_e32 v181, 0xbb00, v99
	s_mov_b32 s14, 0xbcab
	s_movk_i32 s15, 0x39e0
	s_mov_b32 s17, 0xb9e0
	s_mov_b32 s18, 0xb574
	s_movk_i32 s19, 0x3574
	v_mul_f16_e32 v180, 0xbb00, v91
	v_fma_f16 v110, v110, s14, v138
	v_fma_f16 v112, v112, s14, v159
	;; [unrolled: 1-line block ×4, first 2 shown]
	v_fma_f16 v158, v161, s15, -v158
	v_fma_f16 v165, v162, s15, -v165
	;; [unrolled: 1-line block ×4, first 2 shown]
	v_fma_f16 v162, v101, s18, v178
	v_fma_f16 v91, v91, s0, -v177
	v_fma_f16 v99, v99, s0, -v178
	;; [unrolled: 1-line block ×3, first 2 shown]
	s_mov_b32 s16, 0xb70e
	v_fma_f16 v161, v136, s18, v177
	v_fma_f16 v136, v136, s19, -v180
	v_add_f16_e32 v108, v108, v110
	v_add_f16_e32 v158, v158, v110
	;; [unrolled: 1-line block ×5, first 2 shown]
	v_fma_f16 v157, v69, s16, v162
	v_fma_f16 v91, v137, s16, v91
	;; [unrolled: 1-line block ×4, first 2 shown]
	v_add_f16_e32 v160, v160, v112
	v_fma_f16 v112, v137, s16, v161
	v_fma_f16 v136, v137, s16, v136
	v_add_f16_e32 v161, v69, v92
	v_sub_f16_e32 v177, v158, v99
	v_add_f16_e32 v178, v91, v165
	v_add_f16_e32 v158, v99, v158
	v_sub_f16_e32 v165, v165, v91
	v_sub_f16_e32 v180, v92, v69
	v_add_f16_e32 v69, v163, v170
	v_add_f16_e32 v91, v106, v109
	v_sub_f16_e32 v99, v106, v109
	v_add_f16_e32 v106, v166, v169
	v_add_f16_e32 v109, v113, v102
	;; [unrolled: 1-line block ×3, first 2 shown]
	v_sub_f16_e32 v137, v160, v112
	v_sub_f16_e32 v162, v110, v136
	v_add_f16_e32 v110, v136, v110
	v_sub_f16_e32 v108, v108, v157
	v_add_f16_e32 v112, v112, v160
	v_sub_f16_e32 v92, v163, v170
	v_sub_f16_e32 v136, v166, v169
	;; [unrolled: 1-line block ×3, first 2 shown]
	v_add_f16_e32 v113, v167, v168
	v_add_f16_e32 v157, v104, v111
	v_sub_f16_e32 v160, v168, v167
	v_sub_f16_e32 v104, v111, v104
	v_add_f16_e32 v111, v106, v69
	v_add_f16_e32 v163, v109, v91
	v_sub_f16_e32 v166, v106, v69
	v_sub_f16_e32 v167, v109, v91
	;; [unrolled: 1-line block ×6, first 2 shown]
	v_add_f16_e32 v168, v160, v136
	v_add_f16_e32 v169, v104, v102
	v_sub_f16_e32 v170, v160, v136
	v_sub_f16_e32 v181, v104, v102
	;; [unrolled: 1-line block ×4, first 2 shown]
	v_add_f16_e32 v111, v113, v111
	v_add_f16_e32 v113, v157, v163
	v_sub_f16_e32 v160, v92, v160
	v_sub_f16_e32 v104, v99, v104
	v_add_f16_e32 v92, v168, v92
	v_add_f16_e32 v99, v169, v99
	;; [unrolled: 1-line block ×3, first 2 shown]
	v_add_f16_sdwa v163, v93, v113 dst_sel:DWORD dst_unused:UNUSED_PAD src0_sel:WORD_1 src1_sel:DWORD
	v_mul_f16_e32 v69, 0x3a52, v69
	v_mul_f16_e32 v91, 0x3a52, v91
	;; [unrolled: 1-line block ×8, first 2 shown]
	v_fma_f16 v111, v111, s14, v157
	v_fma_f16 v113, v113, s14, v163
	;; [unrolled: 1-line block ×4, first 2 shown]
	v_fma_f16 v93, v166, s15, -v93
	v_fma_f16 v168, v167, s15, -v168
	v_fma_f16 v69, v166, s17, -v69
	v_fma_f16 v91, v167, s17, -v91
	v_fma_f16 v166, v160, s18, v169
	v_fma_f16 v167, v104, s18, v170
	v_fma_f16 v136, v136, s0, -v169
	v_fma_f16 v102, v102, s0, -v170
	;; [unrolled: 1-line block ×4, first 2 shown]
	v_add_f16_e32 v106, v106, v111
	v_add_f16_e32 v109, v109, v113
	;; [unrolled: 1-line block ×6, first 2 shown]
	v_fma_f16 v111, v92, s16, v166
	v_fma_f16 v113, v99, s16, v167
	;; [unrolled: 1-line block ×6, first 2 shown]
	v_add_f16_e32 v166, v99, v69
	v_sub_f16_e32 v167, v91, v92
	v_sub_f16_e32 v169, v93, v102
	v_add_f16_e32 v170, v136, v168
	v_add_f16_e32 v102, v102, v93
	v_sub_f16_e32 v136, v168, v136
	v_sub_f16_e32 v168, v69, v99
	v_add_f16_e32 v181, v92, v91
	v_add_f16_e32 v69, v171, v176
	v_add_f16_e32 v91, v107, v71
	v_add_f16_e32 v93, v172, v175
	v_add_f16_e32 v99, v100, v103
	v_add_f16_e32 v104, v113, v106
	v_sub_f16_e32 v160, v109, v111
	v_sub_f16_e32 v106, v106, v113
	v_add_f16_e32 v109, v111, v109
	v_sub_f16_e32 v92, v171, v176
	v_sub_f16_e32 v71, v107, v71
	v_sub_f16_e32 v107, v172, v175
	v_sub_f16_e32 v100, v100, v103
	v_add_f16_e32 v103, v173, v174
	v_add_f16_e32 v111, v105, v98
	v_sub_f16_e32 v113, v174, v173
	v_sub_f16_e32 v98, v98, v105
	v_add_f16_e32 v105, v93, v69
	v_add_f16_e32 v171, v99, v91
	v_pack_b32_f16 v138, v138, v159
	v_pack_b32_f16 v101, v101, v137
	v_sub_f16_e32 v172, v93, v69
	v_sub_f16_e32 v173, v99, v91
	;; [unrolled: 1-line block ×6, first 2 shown]
	v_add_f16_e32 v174, v113, v107
	v_add_f16_e32 v175, v98, v100
	v_sub_f16_e32 v176, v113, v107
	v_sub_f16_e32 v182, v98, v100
	;; [unrolled: 1-line block ×4, first 2 shown]
	v_add_f16_e32 v103, v103, v105
	v_add_f16_e32 v105, v111, v171
	s_barrier
	ds_write2_b32 v139, v138, v101 offset1:4
	v_pack_b32_f16 v101, v161, v162
	v_pack_b32_f16 v137, v177, v178
	v_sub_f16_e32 v113, v92, v113
	v_sub_f16_e32 v98, v71, v98
	v_add_f16_e32 v92, v174, v92
	v_add_f16_e32 v71, v175, v71
	v_add_f16_e32 v111, v68, v103
	v_add_f16_sdwa v171, v68, v105 dst_sel:DWORD dst_unused:UNUSED_PAD src0_sel:WORD_1 src1_sel:DWORD
	v_mul_f16_e32 v68, 0x3a52, v69
	v_mul_f16_e32 v69, 0x3a52, v91
	;; [unrolled: 1-line block ×8, first 2 shown]
	ds_write2_b32 v139, v101, v137 offset0:8 offset1:12
	v_pack_b32_f16 v101, v158, v165
	v_pack_b32_f16 v110, v180, v110
	v_fma_f16 v103, v103, s14, v111
	v_fma_f16 v105, v105, s14, v171
	;; [unrolled: 1-line block ×4, first 2 shown]
	v_fma_f16 v91, v172, s15, -v91
	v_fma_f16 v174, v173, s15, -v174
	;; [unrolled: 1-line block ×4, first 2 shown]
	v_fma_f16 v172, v113, s18, v175
	v_fma_f16 v173, v98, s18, v176
	v_fma_f16 v107, v107, s0, -v175
	v_fma_f16 v100, v100, s0, -v176
	;; [unrolled: 1-line block ×4, first 2 shown]
	ds_write2_b32 v139, v101, v110 offset0:16 offset1:20
	v_pack_b32_f16 v101, v108, v112
	v_add_f16_e32 v93, v93, v103
	v_add_f16_e32 v99, v99, v105
	;; [unrolled: 1-line block ×6, first 2 shown]
	v_fma_f16 v103, v92, s16, v172
	v_fma_f16 v105, v71, s16, v173
	;; [unrolled: 1-line block ×6, first 2 shown]
	ds_write_b32 v139, v101 offset:96
	v_pack_b32_f16 v101, v157, v163
	v_pack_b32_f16 v104, v104, v160
	v_add_f16_e32 v173, v71, v68
	v_sub_f16_e32 v175, v69, v92
	v_sub_f16_e32 v176, v91, v100
	v_add_f16_e32 v182, v107, v174
	v_add_f16_e32 v100, v100, v91
	v_sub_f16_e32 v107, v174, v107
	v_sub_f16_e32 v174, v68, v71
	v_add_f16_e32 v183, v92, v69
	v_add_f16_e32 v68, v97, v179
	;; [unrolled: 1-line block ×3, first 2 shown]
	v_sub_f16_e32 v0, v0, v89
	v_add_f16_e32 v89, v96, v70
	v_add_f16_e32 v91, v88, v1
	ds_write2_b32 v140, v101, v104 offset1:4
	v_pack_b32_f16 v101, v166, v167
	v_pack_b32_f16 v104, v169, v170
	v_add_f16_e32 v113, v105, v93
	v_sub_f16_e32 v105, v93, v105
	v_sub_f16_e32 v71, v179, v97
	;; [unrolled: 1-line block ×4, first 2 shown]
	v_add_f16_e32 v88, v95, v94
	v_add_f16_e32 v92, v3, v2
	v_sub_f16_e32 v93, v95, v94
	v_sub_f16_e32 v2, v3, v2
	v_add_f16_e32 v3, v89, v68
	v_add_f16_e32 v94, v91, v69
	ds_write2_b32 v140, v101, v104 offset0:8 offset1:12
	v_pack_b32_f16 v101, v102, v136
	v_pack_b32_f16 v102, v168, v181
	v_sub_f16_e32 v172, v99, v103
	v_add_f16_e32 v103, v103, v99
	v_sub_f16_e32 v95, v89, v68
	v_sub_f16_e32 v96, v91, v69
	;; [unrolled: 1-line block ×6, first 2 shown]
	v_add_f16_e32 v97, v93, v70
	v_add_f16_e32 v98, v2, v1
	v_sub_f16_e32 v99, v93, v70
	v_sub_f16_e32 v179, v2, v1
	;; [unrolled: 1-line block ×4, first 2 shown]
	v_add_f16_e32 v3, v88, v3
	v_add_f16_e32 v88, v92, v94
	ds_write2_b32 v140, v101, v102 offset0:16 offset1:20
	v_pack_b32_f16 v101, v106, v109
	v_sub_f16_e32 v93, v71, v93
	v_sub_f16_e32 v2, v0, v2
	v_add_f16_e32 v71, v97, v71
	v_add_f16_e32 v185, v98, v0
	;; [unrolled: 1-line block ×4, first 2 shown]
	v_mul_f16_e32 v68, 0x3a52, v68
	v_mul_f16_e32 v69, 0x3a52, v69
	;; [unrolled: 1-line block ×8, first 2 shown]
	ds_write_b32 v140, v101 offset:96
	v_pack_b32_f16 v101, v111, v171
	v_pack_b32_f16 v102, v113, v172
	v_fma_f16 v164, v3, s14, v0
	v_fma_f16 v88, v88, s14, v1
	;; [unrolled: 1-line block ×4, first 2 shown]
	v_fma_f16 v90, v95, s15, -v90
	v_fma_f16 v91, v96, s15, -v92
	;; [unrolled: 1-line block ×4, first 2 shown]
	v_fma_f16 v92, v93, s18, v94
	v_fma_f16 v96, v2, s18, v97
	v_fma_f16 v70, v70, s0, -v94
	v_fma_f16 v97, v184, s0, -v97
	;; [unrolled: 1-line block ×4, first 2 shown]
	ds_write2_b32 v142, v101, v102 offset1:4
	v_pack_b32_f16 v101, v173, v175
	v_pack_b32_f16 v102, v176, v182
	v_add_f16_e32 v2, v3, v164
	v_add_f16_e32 v3, v89, v88
	v_add_f16_e32 v90, v90, v164
	v_add_f16_e32 v94, v91, v88
	v_add_f16_e32 v91, v68, v164
	v_add_f16_e32 v95, v69, v88
	v_fma_f16 v92, v71, s16, v92
	v_fma_f16 v93, v185, s16, v96
	;; [unrolled: 1-line block ×6, first 2 shown]
	ds_write2_b32 v142, v101, v102 offset0:8 offset1:12
	v_pack_b32_f16 v100, v100, v107
	v_pack_b32_f16 v101, v174, v183
	v_add_f16_e32 v68, v97, v90
	v_sub_f16_e32 v69, v94, v96
	v_sub_f16_e32 v88, v91, v99
	v_add_f16_e32 v89, v98, v95
	v_sub_f16_e32 v70, v2, v93
	v_add_f16_e32 v71, v92, v3
	ds_write2_b32 v142, v100, v101 offset0:16 offset1:20
	v_pack_b32_f16 v100, v105, v103
	ds_write_b32 v142, v100 offset:96
	s_and_saveexec_b64 s[0:1], s[2:3]
	s_cbranch_execz .LBB0_25
; %bb.24:
	v_sub_f16_e32 v3, v3, v92
	v_mul_u32_u24_e32 v92, 28, v141
	v_add_f16_e32 v2, v93, v2
	v_or_b32_e32 v85, v92, v85
	s_mov_b32 s2, 0x5040100
	v_add_f16_e32 v94, v96, v94
	v_sub_f16_e32 v90, v90, v97
	v_sub_f16_e32 v95, v95, v98
	v_add_f16_e32 v91, v99, v91
	v_lshlrev_b32_e32 v85, 2, v85
	v_perm_b32 v0, v1, v0, s2
	v_pack_b32_f16 v1, v2, v3
	ds_write2_b32 v85, v0, v1 offset1:4
	v_pack_b32_f16 v0, v91, v95
	v_pack_b32_f16 v1, v90, v94
	ds_write2_b32 v85, v0, v1 offset0:8 offset1:12
	v_perm_b32 v0, v69, v68, s2
	v_perm_b32 v1, v89, v88, s2
	ds_write2_b32 v85, v0, v1 offset0:16 offset1:20
	v_perm_b32 v0, v71, v70, s2
	ds_write_b32 v85, v0 offset:96
.LBB0_25:
	s_or_b64 exec, exec, s[0:1]
	s_waitcnt lgkmcnt(0)
	s_barrier
	ds_read2st64_b32 v[90:91], v82 offset1:7
	ds_read2st64_b32 v[0:1], v82 offset0:28 offset1:35
	ds_read2st64_b32 v[92:93], v82 offset0:70 offset1:77
	ds_read2st64_b32 v[94:95], v82 offset0:98 offset1:105
	ds_read2st64_b32 v[96:97], v82 offset0:140 offset1:147
	ds_read2st64_b32 v[98:99], v82 offset0:42 offset1:49
	ds_read2st64_b32 v[100:101], v82 offset0:112 offset1:119
	s_waitcnt lgkmcnt(5)
	v_lshrrev_b32_e32 v110, 16, v1
	v_mul_f16_sdwa v171, v16, v110 dst_sel:DWORD dst_unused:UNUSED_PAD src0_sel:WORD_1 src1_sel:DWORD
	s_waitcnt lgkmcnt(4)
	v_lshrrev_b32_e32 v111, 16, v92
	v_fma_f16 v171, v16, v1, v171
	v_mul_f16_sdwa v1, v16, v1 dst_sel:DWORD dst_unused:UNUSED_PAD src0_sel:WORD_1 src1_sel:DWORD
	v_fma_f16 v1, v16, v110, -v1
	v_mul_f16_sdwa v16, v17, v111 dst_sel:DWORD dst_unused:UNUSED_PAD src0_sel:WORD_1 src1_sel:DWORD
	s_waitcnt lgkmcnt(3)
	v_lshrrev_b32_e32 v112, 16, v95
	v_fma_f16 v16, v17, v92, v16
	v_mul_f16_sdwa v92, v17, v92 dst_sel:DWORD dst_unused:UNUSED_PAD src0_sel:WORD_1 src1_sel:DWORD
	v_fma_f16 v17, v17, v111, -v92
	;; [unrolled: 6-line block ×4, first 2 shown]
	v_mul_f16_sdwa v96, v20, v137 dst_sel:DWORD dst_unused:UNUSED_PAD src0_sel:WORD_1 src1_sel:DWORD
	v_lshrrev_b32_e32 v138, 16, v93
	v_fma_f16 v96, v20, v98, v96
	v_mul_f16_sdwa v98, v20, v98 dst_sel:DWORD dst_unused:UNUSED_PAD src0_sel:WORD_1 src1_sel:DWORD
	v_fma_f16 v20, v20, v137, -v98
	v_mul_f16_sdwa v98, v21, v138 dst_sel:DWORD dst_unused:UNUSED_PAD src0_sel:WORD_1 src1_sel:DWORD
	s_waitcnt lgkmcnt(0)
	v_lshrrev_b32_e32 v139, 16, v100
	v_fma_f16 v98, v21, v93, v98
	v_mul_f16_sdwa v93, v21, v93 dst_sel:DWORD dst_unused:UNUSED_PAD src0_sel:WORD_1 src1_sel:DWORD
	ds_read2st64_b32 v[102:103], v82 offset0:84 offset1:91
	v_fma_f16 v21, v21, v138, -v93
	v_mul_f16_sdwa v93, v22, v139 dst_sel:DWORD dst_unused:UNUSED_PAD src0_sel:WORD_1 src1_sel:DWORD
	v_lshrrev_b32_e32 v140, 16, v97
	v_fma_f16 v93, v22, v100, v93
	v_mul_f16_sdwa v100, v22, v100 dst_sel:DWORD dst_unused:UNUSED_PAD src0_sel:WORD_1 src1_sel:DWORD
	v_fma_f16 v22, v22, v139, -v100
	v_mul_f16_sdwa v100, v23, v140 dst_sel:DWORD dst_unused:UNUSED_PAD src0_sel:WORD_1 src1_sel:DWORD
	v_lshrrev_b32_e32 v142, 16, v99
	v_fma_f16 v100, v23, v97, v100
	v_mul_f16_sdwa v97, v23, v97 dst_sel:DWORD dst_unused:UNUSED_PAD src0_sel:WORD_1 src1_sel:DWORD
	ds_read2st64_b32 v[104:105], v82 offset0:154 offset1:161
	v_fma_f16 v23, v23, v140, -v97
	v_mul_f16_sdwa v97, v24, v142 dst_sel:DWORD dst_unused:UNUSED_PAD src0_sel:WORD_1 src1_sel:DWORD
	s_waitcnt lgkmcnt(1)
	v_lshrrev_b32_e32 v157, 16, v102
	v_fma_f16 v97, v24, v99, v97
	v_mul_f16_sdwa v99, v24, v99 dst_sel:DWORD dst_unused:UNUSED_PAD src0_sel:WORD_1 src1_sel:DWORD
	ds_read2st64_b32 v[106:107], v82 offset0:56 offset1:63
	v_fma_f16 v24, v24, v142, -v99
	v_mul_f16_sdwa v99, v25, v157 dst_sel:DWORD dst_unused:UNUSED_PAD src0_sel:WORD_1 src1_sel:DWORD
	v_lshrrev_b32_e32 v158, 16, v101
	v_fma_f16 v99, v25, v102, v99
	v_mul_f16_sdwa v102, v25, v102 dst_sel:DWORD dst_unused:UNUSED_PAD src0_sel:WORD_1 src1_sel:DWORD
	v_fma_f16 v25, v25, v157, -v102
	v_mul_f16_sdwa v102, v26, v158 dst_sel:DWORD dst_unused:UNUSED_PAD src0_sel:WORD_1 src1_sel:DWORD
	s_waitcnt lgkmcnt(1)
	v_lshrrev_b32_e32 v159, 16, v104
	v_fma_f16 v102, v26, v101, v102
	v_mul_f16_sdwa v101, v26, v101 dst_sel:DWORD dst_unused:UNUSED_PAD src0_sel:WORD_1 src1_sel:DWORD
	ds_read2st64_b32 v[108:109], v82 offset0:126 offset1:133
	v_fma_f16 v26, v26, v158, -v101
	v_mul_f16_sdwa v101, v27, v159 dst_sel:DWORD dst_unused:UNUSED_PAD src0_sel:WORD_1 src1_sel:DWORD
	s_waitcnt lgkmcnt(1)
	v_lshrrev_b32_e32 v161, 16, v106
	v_fma_f16 v101, v27, v104, v101
	v_mul_f16_sdwa v104, v27, v104 dst_sel:DWORD dst_unused:UNUSED_PAD src0_sel:WORD_1 src1_sel:DWORD
	v_fma_f16 v27, v27, v159, -v104
	v_mul_f16_sdwa v104, v28, v161 dst_sel:DWORD dst_unused:UNUSED_PAD src0_sel:WORD_1 src1_sel:DWORD
	v_lshrrev_b32_e32 v162, 16, v103
	v_fma_f16 v104, v28, v106, v104
	v_mul_f16_sdwa v106, v28, v106 dst_sel:DWORD dst_unused:UNUSED_PAD src0_sel:WORD_1 src1_sel:DWORD
	v_fma_f16 v28, v28, v161, -v106
	v_mul_f16_sdwa v106, v29, v162 dst_sel:DWORD dst_unused:UNUSED_PAD src0_sel:WORD_1 src1_sel:DWORD
	s_waitcnt lgkmcnt(0)
	v_lshrrev_b32_e32 v163, 16, v108
	v_fma_f16 v106, v29, v103, v106
	v_mul_f16_sdwa v103, v29, v103 dst_sel:DWORD dst_unused:UNUSED_PAD src0_sel:WORD_1 src1_sel:DWORD
	v_fma_f16 v29, v29, v162, -v103
	v_mul_f16_sdwa v103, v30, v163 dst_sel:DWORD dst_unused:UNUSED_PAD src0_sel:WORD_1 src1_sel:DWORD
	v_lshrrev_b32_e32 v164, 16, v105
	v_fma_f16 v103, v30, v108, v103
	v_mul_f16_sdwa v108, v30, v108 dst_sel:DWORD dst_unused:UNUSED_PAD src0_sel:WORD_1 src1_sel:DWORD
	v_fma_f16 v30, v30, v163, -v108
	v_mul_f16_sdwa v108, v31, v164 dst_sel:DWORD dst_unused:UNUSED_PAD src0_sel:WORD_1 src1_sel:DWORD
	v_lshrrev_b32_e32 v167, 16, v107
	v_fma_f16 v108, v31, v105, v108
	v_mul_f16_sdwa v105, v31, v105 dst_sel:DWORD dst_unused:UNUSED_PAD src0_sel:WORD_1 src1_sel:DWORD
	ds_read_b32 v165, v82 offset:43008
	v_fma_f16 v31, v31, v164, -v105
	v_mul_f16_sdwa v105, v32, v167 dst_sel:DWORD dst_unused:UNUSED_PAD src0_sel:WORD_1 src1_sel:DWORD
	v_lshrrev_b32_e32 v168, 16, v94
	v_fma_f16 v105, v32, v107, v105
	v_mul_f16_sdwa v107, v32, v107 dst_sel:DWORD dst_unused:UNUSED_PAD src0_sel:WORD_1 src1_sel:DWORD
	v_fma_f16 v32, v32, v167, -v107
	v_mul_f16_sdwa v107, v33, v168 dst_sel:DWORD dst_unused:UNUSED_PAD src0_sel:WORD_1 src1_sel:DWORD
	v_lshrrev_b32_e32 v169, 16, v109
	v_fma_f16 v107, v33, v94, v107
	v_mul_f16_sdwa v94, v33, v94 dst_sel:DWORD dst_unused:UNUSED_PAD src0_sel:WORD_1 src1_sel:DWORD
	v_add_f16_e32 v111, v16, v92
	v_fma_f16 v33, v33, v168, -v94
	v_mul_f16_sdwa v94, v34, v169 dst_sel:DWORD dst_unused:UNUSED_PAD src0_sel:WORD_1 src1_sel:DWORD
	v_fma_f16 v111, v111, -0.5, v90
	v_sub_f16_e32 v112, v1, v19
	s_mov_b32 s1, 0xbb9c
	s_movk_i32 s3, 0x3b9c
	s_waitcnt lgkmcnt(0)
	v_lshrrev_b32_e32 v170, 16, v165
	v_fma_f16 v94, v34, v109, v94
	v_mul_f16_sdwa v109, v34, v109 dst_sel:DWORD dst_unused:UNUSED_PAD src0_sel:WORD_1 src1_sel:DWORD
	v_fma_f16 v113, v112, s1, v111
	v_sub_f16_e32 v137, v17, v18
	s_mov_b32 s0, 0xb8b4
	v_sub_f16_e32 v138, v171, v16
	v_sub_f16_e32 v139, v95, v92
	v_fma_f16 v111, v112, s3, v111
	s_movk_i32 s14, 0x38b4
	v_fma_f16 v34, v34, v169, -v109
	v_mul_f16_sdwa v109, v35, v170 dst_sel:DWORD dst_unused:UNUSED_PAD src0_sel:WORD_1 src1_sel:DWORD
	v_mul_f16_sdwa v110, v35, v165 dst_sel:DWORD dst_unused:UNUSED_PAD src0_sel:WORD_1 src1_sel:DWORD
	v_fma_f16 v113, v137, s0, v113
	v_add_f16_e32 v138, v138, v139
	s_movk_i32 s2, 0x34f2
	v_fma_f16 v111, v137, s14, v111
	v_fma_f16 v109, v35, v165, v109
	v_fma_f16 v35, v35, v170, -v110
	v_add_f16_e32 v110, v90, v171
	v_fma_f16 v113, v138, s2, v113
	v_fma_f16 v111, v138, s2, v111
	v_add_f16_e32 v138, v171, v95
	v_lshrrev_b32_e32 v85, 16, v90
	v_add_f16_e32 v110, v110, v16
	v_fma_f16 v90, v138, -0.5, v90
	v_add_f16_e32 v110, v110, v92
	v_fma_f16 v138, v137, s3, v90
	v_sub_f16_e32 v139, v16, v171
	v_sub_f16_e32 v140, v92, v95
	v_fma_f16 v90, v137, s1, v90
	v_add_f16_e32 v137, v17, v18
	v_add_f16_e32 v110, v110, v95
	v_fma_f16 v138, v112, s0, v138
	v_add_f16_e32 v139, v139, v140
	v_fma_f16 v90, v112, s14, v90
	v_fma_f16 v137, v137, -0.5, v85
	v_sub_f16_e32 v95, v171, v95
	v_fma_f16 v138, v139, s2, v138
	v_fma_f16 v90, v139, s2, v90
	;; [unrolled: 1-line block ×3, first 2 shown]
	v_sub_f16_e32 v16, v16, v92
	v_fma_f16 v92, v16, s14, v139
	v_sub_f16_e32 v139, v1, v17
	v_sub_f16_e32 v140, v19, v18
	v_fma_f16 v137, v95, s1, v137
	v_add_f16_e32 v139, v139, v140
	v_fma_f16 v137, v16, s0, v137
	v_fma_f16 v92, v139, s2, v92
	;; [unrolled: 1-line block ×3, first 2 shown]
	v_add_f16_e32 v139, v1, v19
	v_add_f16_e32 v112, v85, v1
	v_fma_f16 v85, v139, -0.5, v85
	v_add_f16_e32 v112, v112, v17
	v_fma_f16 v139, v16, s1, v85
	v_sub_f16_e32 v1, v17, v1
	v_sub_f16_e32 v17, v18, v19
	v_fma_f16 v16, v16, s3, v85
	v_fma_f16 v139, v95, s14, v139
	v_add_f16_e32 v1, v1, v17
	v_fma_f16 v16, v95, s0, v16
	v_fma_f16 v139, v1, s2, v139
	v_fma_f16 v85, v1, s2, v16
	v_add_f16_e32 v1, v91, v96
	v_add_f16_e32 v1, v1, v98
	;; [unrolled: 1-line block ×6, first 2 shown]
	v_fma_f16 v1, v1, -0.5, v91
	v_sub_f16_e32 v16, v20, v23
	v_add_f16_e32 v112, v112, v19
	v_fma_f16 v17, v16, s1, v1
	v_sub_f16_e32 v18, v21, v22
	v_sub_f16_e32 v19, v96, v98
	;; [unrolled: 1-line block ×3, first 2 shown]
	v_fma_f16 v1, v16, s3, v1
	v_add_f16_e32 v19, v19, v140
	v_fma_f16 v1, v18, s14, v1
	v_fma_f16 v142, v19, s2, v1
	v_add_f16_e32 v1, v96, v100
	v_fma_f16 v17, v18, s0, v17
	v_fma_f16 v1, v1, -0.5, v91
	v_lshrrev_b32_e32 v136, 16, v91
	v_fma_f16 v140, v19, s2, v17
	v_fma_f16 v17, v18, s3, v1
	v_sub_f16_e32 v19, v98, v96
	v_sub_f16_e32 v91, v93, v100
	v_fma_f16 v1, v18, s1, v1
	v_add_f16_e32 v19, v19, v91
	v_fma_f16 v1, v16, s14, v1
	v_fma_f16 v157, v19, s2, v1
	v_add_f16_e32 v1, v136, v20
	v_add_f16_e32 v1, v1, v21
	;; [unrolled: 1-line block ×5, first 2 shown]
	v_fma_f16 v17, v16, s0, v17
	v_fma_f16 v1, v1, -0.5, v136
	v_sub_f16_e32 v16, v96, v100
	v_fma_f16 v91, v19, s2, v17
	v_fma_f16 v17, v16, s3, v1
	v_sub_f16_e32 v18, v98, v93
	v_sub_f16_e32 v19, v20, v21
	;; [unrolled: 1-line block ×3, first 2 shown]
	v_fma_f16 v1, v16, s1, v1
	ds_read2st64_b32 v[2:3], v82 offset0:14 offset1:21
	v_add_f16_e32 v19, v19, v93
	v_fma_f16 v1, v18, s0, v1
	v_fma_f16 v96, v19, s2, v1
	v_add_f16_e32 v1, v20, v23
	v_fma_f16 v17, v18, s14, v17
	v_fma_f16 v1, v1, -0.5, v136
	v_fma_f16 v93, v19, s2, v17
	v_fma_f16 v17, v18, s1, v1
	v_sub_f16_e32 v19, v21, v20
	v_sub_f16_e32 v20, v22, v23
	v_fma_f16 v1, v18, s3, v1
	v_add_f16_e32 v19, v19, v20
	v_fma_f16 v1, v16, s0, v1
	v_fma_f16 v100, v19, s2, v1
	s_waitcnt lgkmcnt(0)
	v_add_f16_e32 v1, v2, v97
	v_add_f16_e32 v1, v1, v99
	;; [unrolled: 1-line block ×5, first 2 shown]
	v_fma_f16 v17, v16, s14, v17
	v_fma_f16 v1, v1, -0.5, v2
	v_sub_f16_e32 v16, v24, v27
	v_fma_f16 v98, v19, s2, v17
	v_fma_f16 v17, v16, s1, v1
	v_sub_f16_e32 v18, v25, v26
	v_sub_f16_e32 v19, v97, v99
	;; [unrolled: 1-line block ×3, first 2 shown]
	v_fma_f16 v1, v16, s3, v1
	v_add_f16_e32 v19, v19, v20
	v_fma_f16 v1, v18, s14, v1
	v_fma_f16 v161, v19, s2, v1
	v_add_f16_e32 v1, v97, v101
	v_fma_f16 v17, v18, s0, v17
	v_fma_f16 v1, v1, -0.5, v2
	v_lshrrev_b32_e32 v141, 16, v2
	v_fma_f16 v159, v19, s2, v17
	v_fma_f16 v2, v18, s3, v1
	v_sub_f16_e32 v17, v99, v97
	v_sub_f16_e32 v19, v102, v101
	v_fma_f16 v1, v18, s1, v1
	v_add_f16_e32 v17, v17, v19
	v_fma_f16 v1, v16, s14, v1
	v_fma_f16 v163, v17, s2, v1
	v_add_f16_e32 v1, v141, v24
	v_add_f16_e32 v1, v1, v25
	;; [unrolled: 1-line block ×3, first 2 shown]
	v_fma_f16 v2, v16, s0, v2
	v_add_f16_e32 v164, v1, v27
	v_add_f16_e32 v1, v25, v26
	v_fma_f16 v162, v17, s2, v2
	v_fma_f16 v1, v1, -0.5, v141
	v_sub_f16_e32 v2, v97, v101
	v_fma_f16 v16, v2, s3, v1
	v_sub_f16_e32 v17, v99, v102
	v_sub_f16_e32 v18, v24, v25
	;; [unrolled: 1-line block ×3, first 2 shown]
	v_fma_f16 v1, v2, s1, v1
	v_add_f16_e32 v18, v18, v19
	v_fma_f16 v1, v17, s0, v1
	v_fma_f16 v99, v18, s2, v1
	v_add_f16_e32 v1, v24, v27
	v_fma_f16 v16, v17, s14, v16
	v_fma_f16 v1, v1, -0.5, v141
	v_fma_f16 v97, v18, s2, v16
	v_fma_f16 v16, v17, s1, v1
	v_sub_f16_e32 v18, v25, v24
	v_sub_f16_e32 v19, v26, v27
	v_fma_f16 v1, v17, s3, v1
	v_add_f16_e32 v18, v18, v19
	v_fma_f16 v1, v2, s0, v1
	v_fma_f16 v102, v18, s2, v1
	v_add_f16_e32 v1, v3, v104
	v_add_f16_e32 v1, v1, v106
	;; [unrolled: 1-line block ×5, first 2 shown]
	v_fma_f16 v16, v2, s14, v16
	v_fma_f16 v2, v1, -0.5, v3
	v_sub_f16_e32 v17, v28, v31
	v_fma_f16 v101, v18, s2, v16
	v_fma_f16 v1, v17, s1, v2
	v_sub_f16_e32 v18, v29, v30
	v_sub_f16_e32 v16, v104, v106
	;; [unrolled: 1-line block ×3, first 2 shown]
	v_fma_f16 v2, v17, s3, v2
	v_fma_f16 v1, v18, s0, v1
	v_add_f16_e32 v16, v16, v19
	v_fma_f16 v2, v18, s14, v2
	v_fma_f16 v1, v16, s2, v1
	;; [unrolled: 1-line block ×3, first 2 shown]
	v_add_f16_e32 v2, v104, v108
	v_lshrrev_b32_e32 v160, 16, v3
	v_fma_f16 v3, v2, -0.5, v3
	v_fma_f16 v2, v18, s3, v3
	v_sub_f16_e32 v19, v106, v104
	v_sub_f16_e32 v20, v103, v108
	v_fma_f16 v3, v18, s1, v3
	v_add_f16_e32 v19, v19, v20
	v_fma_f16 v3, v17, s14, v3
	v_fma_f16 v2, v17, s0, v2
	;; [unrolled: 1-line block ×3, first 2 shown]
	v_add_f16_e32 v3, v160, v28
	v_add_f16_e32 v3, v3, v29
	;; [unrolled: 1-line block ×5, first 2 shown]
	v_fma_f16 v18, v3, -0.5, v160
	v_sub_f16_e32 v21, v104, v108
	v_fma_f16 v2, v19, s2, v2
	v_fma_f16 v3, v21, s3, v18
	v_sub_f16_e32 v22, v106, v103
	v_sub_f16_e32 v19, v28, v29
	;; [unrolled: 1-line block ×3, first 2 shown]
	v_fma_f16 v18, v21, s1, v18
	v_add_f16_e32 v19, v19, v20
	v_fma_f16 v18, v22, s0, v18
	v_fma_f16 v20, v19, s2, v18
	v_add_f16_e32 v18, v28, v31
	v_fma_f16 v3, v22, s14, v3
	v_fma_f16 v18, v18, -0.5, v160
	v_fma_f16 v3, v19, s2, v3
	v_fma_f16 v19, v22, s1, v18
	v_sub_f16_e32 v23, v29, v28
	v_sub_f16_e32 v24, v30, v31
	v_fma_f16 v18, v22, s3, v18
	v_fma_f16 v19, v21, s14, v19
	v_add_f16_e32 v23, v23, v24
	v_fma_f16 v18, v21, s0, v18
	v_add_f16_e32 v21, v107, v94
	v_fma_f16 v19, v23, s2, v19
	v_fma_f16 v26, v23, s2, v18
	v_fma_f16 v21, v21, -0.5, v0
	v_sub_f16_e32 v23, v32, v35
	v_fma_f16 v22, v23, s1, v21
	v_sub_f16_e32 v24, v33, v34
	v_sub_f16_e32 v25, v105, v107
	;; [unrolled: 1-line block ×3, first 2 shown]
	v_fma_f16 v21, v23, s3, v21
	v_fma_f16 v22, v24, s0, v22
	v_add_f16_e32 v25, v25, v27
	v_fma_f16 v21, v24, s14, v21
	v_fma_f16 v22, v25, s2, v22
	;; [unrolled: 1-line block ×3, first 2 shown]
	v_add_f16_e32 v25, v105, v109
	v_lshrrev_b32_e32 v166, 16, v0
	v_add_f16_e32 v18, v0, v105
	v_fma_f16 v0, v25, -0.5, v0
	v_fma_f16 v25, v24, s3, v0
	v_sub_f16_e32 v27, v107, v105
	v_sub_f16_e32 v28, v94, v109
	v_fma_f16 v0, v24, s1, v0
	v_fma_f16 v25, v23, s0, v25
	v_add_f16_e32 v27, v27, v28
	v_fma_f16 v0, v23, s14, v0
	v_add_f16_e32 v23, v33, v34
	v_fma_f16 v28, v27, s2, v25
	v_fma_f16 v24, v27, s2, v0
	v_fma_f16 v23, v23, -0.5, v166
	v_sub_f16_e32 v27, v105, v109
	v_fma_f16 v25, v27, s3, v23
	v_sub_f16_e32 v30, v107, v94
	v_sub_f16_e32 v29, v32, v33
	;; [unrolled: 1-line block ×3, first 2 shown]
	v_fma_f16 v23, v27, s1, v23
	v_fma_f16 v25, v30, s14, v25
	v_add_f16_e32 v29, v29, v31
	v_fma_f16 v23, v30, s0, v23
	v_fma_f16 v25, v29, s2, v25
	;; [unrolled: 1-line block ×3, first 2 shown]
	v_add_f16_e32 v29, v32, v35
	v_fma_f16 v31, v29, -0.5, v166
	v_fma_f16 v29, v30, s1, v31
	v_fma_f16 v30, v30, s3, v31
	;; [unrolled: 1-line block ×4, first 2 shown]
	v_pack_b32_f16 v30, v110, v112
	v_pack_b32_f16 v31, v113, v92
	s_barrier
	ds_write2_b32 v143, v30, v31 offset1:28
	v_pack_b32_f16 v30, v138, v139
	v_pack_b32_f16 v31, v90, v85
	ds_write2_b32 v143, v30, v31 offset0:56 offset1:84
	v_pack_b32_f16 v30, v111, v137
	ds_write_b32 v143, v30 offset:448
	v_pack_b32_f16 v30, v95, v158
	v_pack_b32_f16 v31, v140, v93
	ds_write2_b32 v144, v30, v31 offset1:28
	v_pack_b32_f16 v30, v91, v98
	v_pack_b32_f16 v31, v157, v100
	ds_write2_b32 v144, v30, v31 offset0:56 offset1:84
	v_pack_b32_f16 v30, v142, v96
	ds_write_b32 v144, v30 offset:448
	v_pack_b32_f16 v30, v136, v164
	v_pack_b32_f16 v31, v159, v97
	ds_write2_b32 v145, v30, v31 offset1:28
	v_pack_b32_f16 v30, v162, v101
	v_pack_b32_f16 v31, v163, v102
	v_add_f16_e32 v0, v166, v32
	ds_write2_b32 v145, v30, v31 offset0:56 offset1:84
	v_pack_b32_f16 v30, v161, v99
	v_add_f16_e32 v18, v18, v107
	v_add_f16_e32 v0, v0, v33
	ds_write_b32 v145, v30 offset:448
	v_pack_b32_f16 v30, v141, v165
	v_pack_b32_f16 v31, v1, v3
	v_add_f16_e32 v18, v18, v94
	v_add_f16_e32 v0, v0, v34
	v_sub_f16_e32 v32, v33, v32
	v_sub_f16_e32 v33, v34, v35
	ds_write2_b32 v146, v30, v31 offset1:28
	v_pack_b32_f16 v30, v2, v19
	v_pack_b32_f16 v31, v17, v26
	v_add_f16_e32 v18, v18, v109
	v_add_f16_e32 v0, v0, v35
	;; [unrolled: 1-line block ×3, first 2 shown]
	ds_write2_b32 v146, v30, v31 offset0:56 offset1:84
	v_pack_b32_f16 v30, v16, v20
	v_fma_f16 v29, v32, s2, v29
	v_fma_f16 v27, v32, s2, v27
	ds_write_b32 v146, v30 offset:448
	v_pack_b32_f16 v30, v18, v0
	v_pack_b32_f16 v31, v22, v25
	ds_write2_b32 v147, v30, v31 offset1:28
	v_pack_b32_f16 v30, v28, v29
	v_pack_b32_f16 v31, v24, v27
	ds_write2_b32 v147, v30, v31 offset0:56 offset1:84
	v_pack_b32_f16 v30, v21, v23
	ds_write_b32 v147, v30 offset:448
	s_waitcnt lgkmcnt(0)
	s_barrier
	ds_read_b32 v98, v82 offset:2800
	ds_read_b32 v97, v82 offset:5600
	;; [unrolled: 1-line block ×14, first 2 shown]
	ds_read_b32 v30, v82
	ds_read_b32 v31, v82 offset:42000
	s_and_saveexec_b64 s[0:1], s[4:5]
	s_cbranch_execz .LBB0_27
; %bb.26:
	ds_read_b32 v1, v82 offset:1792
	ds_read_b32 v2, v82 offset:4592
	;; [unrolled: 1-line block ×16, first 2 shown]
	s_waitcnt lgkmcnt(14)
	v_lshrrev_b32_e32 v3, 16, v1
	v_lshrrev_b32_e32 v19, 16, v2
	s_waitcnt lgkmcnt(13)
	v_lshrrev_b32_e32 v26, 16, v17
	s_waitcnt lgkmcnt(12)
	v_lshrrev_b32_e32 v20, 16, v16
	s_waitcnt lgkmcnt(7)
	v_lshrrev_b32_e32 v0, 16, v18
	s_waitcnt lgkmcnt(6)
	v_lshrrev_b32_e32 v25, 16, v22
	s_waitcnt lgkmcnt(5)
	v_lshrrev_b32_e32 v29, 16, v28
	s_waitcnt lgkmcnt(4)
	v_lshrrev_b32_e32 v27, 16, v24
	s_waitcnt lgkmcnt(3)
	v_lshrrev_b32_e32 v23, 16, v21
	s_waitcnt lgkmcnt(2)
	v_lshrrev_b32_e32 v69, 16, v68
	s_waitcnt lgkmcnt(1)
	v_lshrrev_b32_e32 v89, 16, v88
	s_waitcnt lgkmcnt(0)
	v_lshrrev_b32_e32 v71, 16, v70
	v_lshrrev_b32_e32 v150, 16, v148
	;; [unrolled: 1-line block ×5, first 2 shown]
.LBB0_27:
	s_or_b64 exec, exec, s[0:1]
	s_waitcnt lgkmcnt(14)
	v_lshrrev_b32_e32 v100, 16, v98
	v_mul_f16_sdwa v137, v36, v100 dst_sel:DWORD dst_unused:UNUSED_PAD src0_sel:WORD_1 src1_sel:DWORD
	v_lshrrev_b32_e32 v101, 16, v97
	v_fma_f16 v137, v36, v98, v137
	v_mul_f16_sdwa v98, v36, v98 dst_sel:DWORD dst_unused:UNUSED_PAD src0_sel:WORD_1 src1_sel:DWORD
	v_fma_f16 v36, v36, v100, -v98
	v_mul_f16_sdwa v98, v37, v101 dst_sel:DWORD dst_unused:UNUSED_PAD src0_sel:WORD_1 src1_sel:DWORD
	s_waitcnt lgkmcnt(13)
	v_lshrrev_b32_e32 v102, 16, v96
	v_fma_f16 v98, v37, v97, v98
	v_mul_f16_sdwa v97, v37, v97 dst_sel:DWORD dst_unused:UNUSED_PAD src0_sel:WORD_1 src1_sel:DWORD
	v_fma_f16 v37, v37, v101, -v97
	v_mul_f16_sdwa v97, v38, v102 dst_sel:DWORD dst_unused:UNUSED_PAD src0_sel:WORD_1 src1_sel:DWORD
	s_waitcnt lgkmcnt(12)
	;; [unrolled: 6-line block ×13, first 2 shown]
	v_lshrrev_b32_e32 v136, 16, v31
	v_fma_f16 v76, v77, v32, v76
	v_mul_f16_sdwa v32, v77, v32 dst_sel:DWORD dst_unused:UNUSED_PAD src0_sel:WORD_1 src1_sel:DWORD
	v_fma_f16 v32, v77, v113, -v32
	v_mul_f16_sdwa v77, v78, v136 dst_sel:DWORD dst_unused:UNUSED_PAD src0_sel:WORD_1 src1_sel:DWORD
	v_lshrrev_b32_e32 v99, 16, v30
	v_fma_f16 v77, v78, v31, v77
	v_mul_f16_sdwa v31, v78, v31 dst_sel:DWORD dst_unused:UNUSED_PAD src0_sel:WORD_1 src1_sel:DWORD
	v_fma_f16 v31, v78, v136, -v31
	v_sub_f16_e32 v78, v30, v92
	v_sub_f16_e32 v43, v99, v43
	;; [unrolled: 1-line block ×8, first 2 shown]
	v_fma_f16 v96, v96, 2.0, -v46
	v_fma_f16 v39, v39, 2.0, -v34
	;; [unrolled: 1-line block ×4, first 2 shown]
	v_add_f16_e32 v34, v78, v34
	v_sub_f16_e32 v46, v43, v46
	v_add_f16_e32 v32, v90, v32
	v_sub_f16_e32 v76, v45, v76
	v_fma_f16 v30, v30, 2.0, -v78
	v_fma_f16 v92, v99, 2.0, -v43
	;; [unrolled: 1-line block ×4, first 2 shown]
	v_sub_f16_e32 v91, v137, v91
	v_sub_f16_e32 v44, v36, v44
	;; [unrolled: 1-line block ×8, first 2 shown]
	v_fma_f16 v78, v78, 2.0, -v34
	v_fma_f16 v43, v43, 2.0, -v46
	;; [unrolled: 1-line block ×4, first 2 shown]
	s_mov_b32 s2, 0xb9a8
	v_fma_f16 v95, v95, 2.0, -v47
	v_fma_f16 v40, v40, 2.0, -v33
	;; [unrolled: 1-line block ×4, first 2 shown]
	v_add_f16_e32 v33, v91, v33
	v_sub_f16_e32 v47, v44, v47
	v_add_f16_e32 v31, v85, v31
	v_sub_f16_e32 v77, v35, v77
	v_fma_f16 v100, v90, s2, v78
	v_fma_f16 v101, v45, s2, v43
	s_movk_i32 s3, 0x39a8
	v_fma_f16 v99, v137, 2.0, -v91
	v_fma_f16 v36, v36, 2.0, -v44
	v_fma_f16 v97, v97, 2.0, -v85
	v_fma_f16 v38, v38, 2.0, -v35
	v_fma_f16 v91, v91, 2.0, -v33
	v_fma_f16 v44, v44, 2.0, -v47
	v_fma_f16 v85, v85, 2.0, -v31
	v_fma_f16 v35, v35, 2.0, -v77
	v_fma_f16 v45, v45, s3, v100
	v_fma_f16 v90, v90, s2, v101
	;; [unrolled: 1-line block ×8, first 2 shown]
	v_sub_f16_e32 v96, v30, v96
	v_sub_f16_e32 v39, v92, v39
	;; [unrolled: 1-line block ×8, first 2 shown]
	v_fma_f16 v35, v35, s3, v100
	v_fma_f16 v85, v85, s2, v101
	v_fma_f16 v98, v98, 2.0, -v94
	v_fma_f16 v37, v37, 2.0, -v41
	;; [unrolled: 1-line block ×6, first 2 shown]
	v_add_f16_e32 v41, v96, v41
	v_sub_f16_e32 v94, v39, v94
	v_fma_f16 v91, v91, 2.0, -v35
	v_fma_f16 v44, v44, 2.0, -v85
	v_add_f16_e32 v42, v95, v42
	v_sub_f16_e32 v93, v40, v93
	v_fma_f16 v100, v31, s3, v33
	v_fma_f16 v101, v77, s3, v47
	s_mov_b32 s14, 0xbb64
	v_fma_f16 v30, v30, 2.0, -v96
	v_fma_f16 v92, v92, 2.0, -v39
	v_fma_f16 v99, v99, 2.0, -v95
	v_fma_f16 v36, v36, 2.0, -v40
	v_fma_f16 v96, v96, 2.0, -v41
	v_fma_f16 v39, v39, 2.0, -v94
	v_fma_f16 v95, v95, 2.0, -v42
	v_fma_f16 v40, v40, 2.0, -v93
	v_fma_f16 v77, v77, s3, v100
	v_fma_f16 v31, v31, s2, v101
	;; [unrolled: 1-line block ×4, first 2 shown]
	s_movk_i32 s16, 0x361f
	s_mov_b32 s15, 0xb61f
	v_sub_f16_e32 v98, v30, v98
	v_sub_f16_e32 v37, v92, v37
	v_fma_f16 v34, v34, 2.0, -v76
	v_fma_f16 v46, v46, 2.0, -v32
	v_sub_f16_e32 v97, v99, v97
	v_sub_f16_e32 v38, v36, v38
	v_fma_f16 v33, v33, 2.0, -v77
	v_fma_f16 v47, v47, 2.0, -v31
	v_fma_f16 v44, v44, s16, v100
	v_fma_f16 v91, v91, s15, v101
	;; [unrolled: 1-line block ×4, first 2 shown]
	v_fma_f16 v30, v30, 2.0, -v98
	v_fma_f16 v92, v92, 2.0, -v37
	;; [unrolled: 1-line block ×4, first 2 shown]
	v_fma_f16 v40, v40, s3, v100
	v_fma_f16 v95, v95, s2, v101
	;; [unrolled: 1-line block ×4, first 2 shown]
	s_movk_i32 s17, 0x3b64
	v_sub_f16_e32 v99, v30, v99
	v_sub_f16_e32 v36, v92, v36
	v_fma_f16 v47, v47, s17, v100
	v_fma_f16 v33, v33, s14, v101
	;; [unrolled: 1-line block ×4, first 2 shown]
	v_fma_f16 v30, v30, 2.0, -v99
	v_fma_f16 v92, v92, 2.0, -v36
	;; [unrolled: 1-line block ×4, first 2 shown]
	v_fma_f16 v85, v85, s17, v100
	v_fma_f16 v35, v35, s14, v101
	;; [unrolled: 1-line block ×4, first 2 shown]
	v_fma_f16 v96, v96, 2.0, -v40
	v_fma_f16 v39, v39, 2.0, -v95
	;; [unrolled: 1-line block ×4, first 2 shown]
	v_add_f16_e32 v38, v98, v38
	v_sub_f16_e32 v97, v37, v97
	v_fma_f16 v93, v93, s3, v100
	v_fma_f16 v42, v42, s2, v101
	;; [unrolled: 1-line block ×4, first 2 shown]
	v_pack_b32_f16 v30, v30, v92
	v_pack_b32_f16 v43, v78, v43
	v_fma_f16 v98, v98, 2.0, -v38
	v_fma_f16 v37, v37, 2.0, -v97
	;; [unrolled: 1-line block ×4, first 2 shown]
	v_fma_f16 v31, v31, s16, v100
	v_fma_f16 v77, v77, s15, v101
	s_barrier
	ds_write2_b32 v153, v30, v43 offset1:140
	v_pack_b32_f16 v30, v96, v39
	v_pack_b32_f16 v34, v34, v46
	v_add_u32_e32 v39, 0x400, v153
	v_fma_f16 v41, v41, 2.0, -v93
	v_fma_f16 v94, v94, 2.0, -v42
	;; [unrolled: 1-line block ×4, first 2 shown]
	ds_write2_b32 v39, v30, v34 offset0:24 offset1:164
	v_pack_b32_f16 v30, v98, v37
	v_pack_b32_f16 v34, v45, v90
	v_add_u32_e32 v37, 0x800, v153
	ds_write2_b32 v37, v30, v34 offset0:48 offset1:188
	v_pack_b32_f16 v30, v41, v94
	v_pack_b32_f16 v32, v76, v32
	v_add_u32_e32 v34, 0xc00, v153
	;; [unrolled: 4-line block ×6, first 2 shown]
	ds_write2_b32 v32, v30, v31 offset0:40 offset1:180
	s_and_saveexec_b64 s[0:1], s[4:5]
	s_cbranch_execz .LBB0_29
; %bb.28:
	v_mul_f16_sdwa v30, v5, v17 dst_sel:DWORD dst_unused:UNUSED_PAD src0_sel:WORD_1 src1_sel:DWORD
	v_fma_f16 v30, v5, v26, -v30
	v_mul_f16_sdwa v32, v9, v29 dst_sel:DWORD dst_unused:UNUSED_PAD src0_sel:WORD_1 src1_sel:DWORD
	v_mul_f16_sdwa v26, v5, v26 dst_sel:DWORD dst_unused:UNUSED_PAD src0_sel:WORD_1 src1_sel:DWORD
	v_fma_f16 v32, v9, v28, v32
	v_mul_f16_sdwa v28, v9, v28 dst_sel:DWORD dst_unused:UNUSED_PAD src0_sel:WORD_1 src1_sel:DWORD
	v_fma_f16 v5, v5, v17, v26
	v_mul_f16_sdwa v26, v7, v18 dst_sel:DWORD dst_unused:UNUSED_PAD src0_sel:WORD_1 src1_sel:DWORD
	v_mul_f16_sdwa v38, v6, v16 dst_sel:DWORD dst_unused:UNUSED_PAD src0_sel:WORD_1 src1_sel:DWORD
	;; [unrolled: 1-line block ×6, first 2 shown]
	v_fma_f16 v9, v9, v29, -v28
	v_mul_f16_sdwa v28, v73, v155 dst_sel:DWORD dst_unused:UNUSED_PAD src0_sel:WORD_1 src1_sel:DWORD
	v_mul_f16_sdwa v17, v13, v89 dst_sel:DWORD dst_unused:UNUSED_PAD src0_sel:WORD_1 src1_sel:DWORD
	v_fma_f16 v26, v7, v0, -v26
	v_mul_f16_sdwa v29, v15, v148 dst_sel:DWORD dst_unused:UNUSED_PAD src0_sel:WORD_1 src1_sel:DWORD
	v_mul_f16_sdwa v35, v11, v23 dst_sel:DWORD dst_unused:UNUSED_PAD src0_sel:WORD_1 src1_sel:DWORD
	v_fma_f16 v38, v6, v20, -v38
	v_fma_f16 v40, v10, v24, v40
	v_fma_f16 v43, v4, v19, -v43
	v_fma_f16 v45, v8, v22, v45
	v_mul_f16_sdwa v24, v10, v24 dst_sel:DWORD dst_unused:UNUSED_PAD src0_sel:WORD_1 src1_sel:DWORD
	v_mul_f16_sdwa v20, v6, v20 dst_sel:DWORD dst_unused:UNUSED_PAD src0_sel:WORD_1 src1_sel:DWORD
	;; [unrolled: 1-line block ×5, first 2 shown]
	v_fma_f16 v31, v13, v89, -v31
	v_mul_f16_sdwa v33, v73, v156 dst_sel:DWORD dst_unused:UNUSED_PAD src0_sel:WORD_1 src1_sel:DWORD
	v_fma_f16 v28, v73, v156, -v28
	v_fma_f16 v13, v13, v88, v17
	v_fma_f16 v29, v15, v150, -v29
	v_fma_f16 v35, v11, v21, v35
	v_mul_f16_sdwa v39, v14, v70 dst_sel:DWORD dst_unused:UNUSED_PAD src0_sel:WORD_1 src1_sel:DWORD
	v_mul_f16_sdwa v41, v74, v154 dst_sel:DWORD dst_unused:UNUSED_PAD src0_sel:WORD_1 src1_sel:DWORD
	;; [unrolled: 1-line block ×4, first 2 shown]
	v_fma_f16 v10, v10, v27, -v24
	v_mul_f16_sdwa v24, v74, v151 dst_sel:DWORD dst_unused:UNUSED_PAD src0_sel:WORD_1 src1_sel:DWORD
	v_fma_f16 v6, v6, v16, v20
	v_mul_f16_sdwa v16, v14, v71 dst_sel:DWORD dst_unused:UNUSED_PAD src0_sel:WORD_1 src1_sel:DWORD
	v_fma_f16 v8, v8, v25, -v22
	v_mul_f16_sdwa v22, v72, v149 dst_sel:DWORD dst_unused:UNUSED_PAD src0_sel:WORD_1 src1_sel:DWORD
	v_fma_f16 v2, v4, v2, v19
	v_mul_f16_sdwa v4, v12, v69 dst_sel:DWORD dst_unused:UNUSED_PAD src0_sel:WORD_1 src1_sel:DWORD
	v_mul_f16_sdwa v21, v11, v21 dst_sel:DWORD dst_unused:UNUSED_PAD src0_sel:WORD_1 src1_sel:DWORD
	v_fma_f16 v0, v7, v18, v0
	v_mul_f16_sdwa v7, v15, v150 dst_sel:DWORD dst_unused:UNUSED_PAD src0_sel:WORD_1 src1_sel:DWORD
	v_fma_f16 v33, v73, v155, v33
	v_sub_f16_e32 v28, v9, v28
	v_sub_f16_e32 v13, v5, v13
	;; [unrolled: 1-line block ×4, first 2 shown]
	v_fma_f16 v39, v14, v71, -v39
	v_fma_f16 v41, v74, v151, v41
	v_fma_f16 v44, v12, v69, -v44
	v_fma_f16 v46, v72, v149, v46
	;; [unrolled: 2-line block ×5, first 2 shown]
	v_sub_f16_e32 v31, v30, v31
	v_sub_f16_e32 v33, v32, v33
	v_add_f16_e32 v17, v28, v13
	v_add_f16_e32 v36, v29, v35
	v_sub_f16_e32 v39, v38, v39
	v_sub_f16_e32 v41, v40, v41
	;; [unrolled: 1-line block ×11, first 2 shown]
	v_fma_f16 v37, v17, s3, v36
	v_sub_f16_e32 v42, v39, v41
	v_sub_f16_e32 v47, v44, v46
	v_add_f16_e32 v16, v24, v14
	v_add_f16_e32 v12, v22, v4
	v_sub_f16_e32 v15, v11, v7
	v_fma_f16 v37, v34, s3, v37
	v_fma_f16 v19, v16, s3, v12
	;; [unrolled: 1-line block ×3, first 2 shown]
	v_fma_f16 v30, v30, 2.0, -v31
	v_fma_f16 v9, v9, 2.0, -v28
	;; [unrolled: 1-line block ×12, first 2 shown]
	v_fma_f16 v73, v42, s3, v47
	v_fma_f16 v19, v42, s3, v19
	v_sub_f16_e32 v9, v30, v9
	v_sub_f16_e32 v0, v1, v0
	v_fma_f16 v28, v43, 2.0, -v44
	v_fma_f16 v8, v8, 2.0, -v22
	;; [unrolled: 1-line block ×4, first 2 shown]
	v_sub_f16_e32 v10, v38, v10
	v_sub_f16_e32 v24, v2, v24
	v_fma_f16 v5, v5, 2.0, -v13
	v_fma_f16 v13, v13, 2.0, -v17
	v_fma_f16 v42, v39, s2, v35
	v_fma_f16 v14, v14, 2.0, -v16
	v_fma_f16 v4, v4, 2.0, -v12
	v_fma_f16 v20, v16, s2, v73
	v_fma_f16 v18, v17, s2, v18
	v_add_f16_e32 v7, v9, v0
	v_sub_f16_e32 v8, v28, v8
	v_sub_f16_e32 v22, v6, v22
	v_add_f16_e32 v41, v10, v24
	v_fma_f16 v3, v3, 2.0, -v11
	v_fma_f16 v26, v26, 2.0, -v29
	;; [unrolled: 1-line block ×3, first 2 shown]
	v_fma_f16 v17, v13, s2, v34
	v_fma_f16 v16, v14, s2, v42
	v_fma_f16 v14, v14, s2, v4
	v_fma_f16 v11, v11, 2.0, -v15
	v_fma_f16 v25, v19, s17, v37
	v_fma_f16 v21, v20, s17, v18
	v_sub_f16_e32 v40, v8, v22
	v_fma_f16 v43, v41, s3, v7
	v_sub_f16_e32 v29, v5, v29
	v_fma_f16 v17, v31, s3, v17
	v_fma_f16 v14, v39, s3, v14
	;; [unrolled: 1-line block ×6, first 2 shown]
	v_sub_f16_e32 v26, v3, v26
	v_fma_f16 v39, v14, s16, v17
	v_fma_f16 v13, v13, s2, v31
	v_fma_f16 v1, v1, 2.0, -v0
	v_fma_f16 v5, v5, 2.0, -v29
	;; [unrolled: 1-line block ×10, first 2 shown]
	v_sub_f16_e32 v32, v26, v29
	v_fma_f16 v39, v16, s17, v39
	v_fma_f16 v31, v16, s16, v13
	v_sub_f16_e32 v5, v1, v5
	v_sub_f16_e32 v10, v28, v10
	v_fma_f16 v3, v3, 2.0, -v26
	v_fma_f16 v9, v30, 2.0, -v9
	;; [unrolled: 1-line block ×4, first 2 shown]
	v_fma_f16 v19, v12, s15, v36
	v_fma_f16 v18, v20, s15, v15
	v_fma_f16 v0, v0, 2.0, -v7
	v_fma_f16 v7, v8, 2.0, -v40
	;; [unrolled: 1-line block ×4, first 2 shown]
	v_fma_f16 v31, v14, s14, v31
	v_add_f16_e32 v29, v5, v10
	v_sub_f16_e32 v9, v3, v9
	v_sub_f16_e32 v6, v2, v6
	v_fma_f16 v19, v20, s17, v19
	v_fma_f16 v12, v12, s14, v18
	;; [unrolled: 1-line block ×3, first 2 shown]
	v_fma_f16 v20, v26, 2.0, -v32
	v_fma_f16 v17, v34, 2.0, -v17
	;; [unrolled: 1-line block ×5, first 2 shown]
	v_fma_f16 v33, v40, s3, v32
	v_fma_f16 v44, v13, 2.0, -v31
	v_fma_f16 v38, v5, 2.0, -v29
	v_fma_f16 v18, v7, s3, v18
	v_fma_f16 v7, v7, s2, v20
	;; [unrolled: 1-line block ×4, first 2 shown]
	v_fma_f16 v1, v1, 2.0, -v5
	v_fma_f16 v2, v2, 2.0, -v6
	;; [unrolled: 1-line block ×4, first 2 shown]
	v_fma_f16 v33, v41, s2, v33
	v_fma_f16 v7, v8, s2, v7
	;; [unrolled: 1-line block ×4, first 2 shown]
	v_sub_f16_e32 v2, v1, v2
	v_sub_f16_e32 v5, v3, v5
	s_movk_i32 s2, 0x8c0
	v_sub_f16_e32 v22, v9, v6
	v_fma_f16 v17, v17, 2.0, -v14
	v_fma_f16 v11, v11, 2.0, -v4
	;; [unrolled: 1-line block ×4, first 2 shown]
	v_mad_legacy_u16 v6, v134, s2, v135
	v_fma_f16 v36, v36, 2.0, -v19
	v_fma_f16 v15, v15, 2.0, -v12
	;; [unrolled: 1-line block ×4, first 2 shown]
	v_lshlrev_b32_e32 v6, 2, v6
	v_pack_b32_f16 v1, v1, v3
	v_pack_b32_f16 v3, v17, v11
	v_fma_f16 v30, v9, 2.0, -v22
	ds_write2_b32 v6, v1, v3 offset1:140
	v_pack_b32_f16 v0, v0, v8
	v_pack_b32_f16 v1, v36, v15
	v_add_u32_e32 v3, 0x400, v6
	v_fma_f16 v27, v37, 2.0, -v25
	v_fma_f16 v46, v32, 2.0, -v33
	ds_write2_b32 v3, v0, v1 offset0:24 offset1:164
	v_pack_b32_f16 v0, v38, v30
	v_pack_b32_f16 v1, v42, v44
	v_add_u32_e32 v3, 0x800, v6
	ds_write2_b32 v3, v0, v1 offset0:48 offset1:188
	v_pack_b32_f16 v0, v45, v46
	v_pack_b32_f16 v1, v27, v23
	v_add_u32_e32 v3, 0xc00, v6
	;; [unrolled: 4-line block ×6, first 2 shown]
	ds_write2_b32 v2, v0, v1 offset0:40 offset1:180
.LBB0_29:
	s_or_b64 exec, exec, s[0:1]
	s_waitcnt lgkmcnt(0)
	s_barrier
	ds_read2st64_b32 v[6:7], v82 offset1:7
	ds_read2st64_b32 v[2:3], v82 offset0:28 offset1:35
	ds_read2st64_b32 v[8:9], v82 offset0:70 offset1:77
	;; [unrolled: 1-line block ×6, first 2 shown]
	s_waitcnt lgkmcnt(5)
	v_lshrrev_b32_e32 v26, 16, v3
	v_mul_f16_sdwa v71, v48, v26 dst_sel:DWORD dst_unused:UNUSED_PAD src0_sel:WORD_1 src1_sel:DWORD
	s_waitcnt lgkmcnt(4)
	v_lshrrev_b32_e32 v27, 16, v8
	v_fma_f16 v71, v48, v3, v71
	v_mul_f16_sdwa v3, v48, v3 dst_sel:DWORD dst_unused:UNUSED_PAD src0_sel:WORD_1 src1_sel:DWORD
	v_fma_f16 v3, v48, v26, -v3
	v_mul_f16_sdwa v26, v49, v27 dst_sel:DWORD dst_unused:UNUSED_PAD src0_sel:WORD_1 src1_sel:DWORD
	s_waitcnt lgkmcnt(3)
	v_lshrrev_b32_e32 v28, 16, v11
	v_fma_f16 v26, v49, v8, v26
	v_mul_f16_sdwa v8, v49, v8 dst_sel:DWORD dst_unused:UNUSED_PAD src0_sel:WORD_1 src1_sel:DWORD
	v_fma_f16 v8, v49, v27, -v8
	v_mul_f16_sdwa v27, v50, v28 dst_sel:DWORD dst_unused:UNUSED_PAD src0_sel:WORD_1 src1_sel:DWORD
	s_waitcnt lgkmcnt(2)
	v_lshrrev_b32_e32 v29, 16, v12
	v_fma_f16 v27, v50, v11, v27
	v_mul_f16_sdwa v11, v50, v11 dst_sel:DWORD dst_unused:UNUSED_PAD src0_sel:WORD_1 src1_sel:DWORD
	v_fma_f16 v11, v50, v28, -v11
	v_mul_f16_sdwa v28, v51, v29 dst_sel:DWORD dst_unused:UNUSED_PAD src0_sel:WORD_1 src1_sel:DWORD
	s_waitcnt lgkmcnt(1)
	v_lshrrev_b32_e32 v31, 16, v14
	v_fma_f16 v28, v51, v12, v28
	v_mul_f16_sdwa v12, v51, v12 dst_sel:DWORD dst_unused:UNUSED_PAD src0_sel:WORD_1 src1_sel:DWORD
	v_fma_f16 v12, v51, v29, -v12
	v_mul_f16_sdwa v29, v52, v31 dst_sel:DWORD dst_unused:UNUSED_PAD src0_sel:WORD_1 src1_sel:DWORD
	v_lshrrev_b32_e32 v32, 16, v9
	v_fma_f16 v29, v52, v14, v29
	v_mul_f16_sdwa v14, v52, v14 dst_sel:DWORD dst_unused:UNUSED_PAD src0_sel:WORD_1 src1_sel:DWORD
	v_fma_f16 v14, v52, v31, -v14
	v_mul_f16_sdwa v31, v53, v32 dst_sel:DWORD dst_unused:UNUSED_PAD src0_sel:WORD_1 src1_sel:DWORD
	s_waitcnt lgkmcnt(0)
	v_lshrrev_b32_e32 v33, 16, v16
	v_fma_f16 v31, v53, v9, v31
	v_mul_f16_sdwa v9, v53, v9 dst_sel:DWORD dst_unused:UNUSED_PAD src0_sel:WORD_1 src1_sel:DWORD
	v_fma_f16 v9, v53, v32, -v9
	v_mul_f16_sdwa v32, v54, v33 dst_sel:DWORD dst_unused:UNUSED_PAD src0_sel:WORD_1 src1_sel:DWORD
	v_lshrrev_b32_e32 v34, 16, v13
	v_fma_f16 v32, v54, v16, v32
	v_mul_f16_sdwa v16, v54, v16 dst_sel:DWORD dst_unused:UNUSED_PAD src0_sel:WORD_1 src1_sel:DWORD
	ds_read2st64_b32 v[18:19], v82 offset0:84 offset1:91
	v_fma_f16 v16, v54, v33, -v16
	v_mul_f16_sdwa v33, v55, v34 dst_sel:DWORD dst_unused:UNUSED_PAD src0_sel:WORD_1 src1_sel:DWORD
	v_lshrrev_b32_e32 v36, 16, v15
	v_fma_f16 v33, v55, v13, v33
	v_mul_f16_sdwa v13, v55, v13 dst_sel:DWORD dst_unused:UNUSED_PAD src0_sel:WORD_1 src1_sel:DWORD
	v_fma_f16 v13, v55, v34, -v13
	v_mul_f16_sdwa v34, v56, v36 dst_sel:DWORD dst_unused:UNUSED_PAD src0_sel:WORD_1 src1_sel:DWORD
	v_add_f16_e32 v51, v26, v27
	v_fma_f16 v34, v56, v15, v34
	v_mul_f16_sdwa v15, v56, v15 dst_sel:DWORD dst_unused:UNUSED_PAD src0_sel:WORD_1 src1_sel:DWORD
	v_fma_f16 v51, v51, -0.5, v6
	v_sub_f16_e32 v52, v3, v12
	s_mov_b32 s1, 0xbb9c
	s_movk_i32 s3, 0x3b9c
	v_fma_f16 v15, v56, v36, -v15
	v_fma_f16 v53, v52, s1, v51
	v_sub_f16_e32 v54, v8, v11
	s_mov_b32 s0, 0xb8b4
	v_sub_f16_e32 v55, v71, v26
	v_sub_f16_e32 v56, v28, v27
	v_fma_f16 v51, v52, s3, v51
	s_movk_i32 s4, 0x38b4
	s_waitcnt lgkmcnt(0)
	v_lshrrev_b32_e32 v37, 16, v18
	v_fma_f16 v53, v54, s0, v53
	v_add_f16_e32 v55, v55, v56
	s_movk_i32 s2, 0x34f2
	v_fma_f16 v51, v54, s4, v51
	v_mul_f16_sdwa v36, v57, v37 dst_sel:DWORD dst_unused:UNUSED_PAD src0_sel:WORD_1 src1_sel:DWORD
	v_add_f16_e32 v50, v6, v71
	v_fma_f16 v53, v55, s2, v53
	v_fma_f16 v51, v55, s2, v51
	v_add_f16_e32 v55, v71, v28
	v_lshrrev_b32_e32 v1, 16, v6
	v_fma_f16 v36, v57, v18, v36
	v_mul_f16_sdwa v18, v57, v18 dst_sel:DWORD dst_unused:UNUSED_PAD src0_sel:WORD_1 src1_sel:DWORD
	v_add_f16_e32 v50, v50, v26
	v_fma_f16 v6, v55, -0.5, v6
	v_fma_f16 v18, v57, v37, -v18
	v_add_f16_e32 v50, v50, v27
	v_fma_f16 v55, v54, s3, v6
	v_sub_f16_e32 v56, v26, v71
	v_sub_f16_e32 v57, v27, v28
	v_fma_f16 v6, v54, s1, v6
	v_add_f16_e32 v54, v8, v11
	v_add_f16_e32 v50, v50, v28
	v_fma_f16 v55, v52, s0, v55
	v_add_f16_e32 v56, v56, v57
	v_fma_f16 v6, v52, s4, v6
	v_fma_f16 v54, v54, -0.5, v1
	v_sub_f16_e32 v28, v71, v28
	v_fma_f16 v55, v56, s2, v55
	v_fma_f16 v6, v56, s2, v6
	;; [unrolled: 1-line block ×3, first 2 shown]
	v_sub_f16_e32 v26, v26, v27
	v_fma_f16 v27, v26, s4, v56
	v_sub_f16_e32 v56, v3, v8
	v_sub_f16_e32 v57, v12, v11
	v_fma_f16 v54, v28, s1, v54
	v_add_f16_e32 v56, v56, v57
	v_fma_f16 v54, v26, s0, v54
	v_add_f16_e32 v52, v1, v3
	v_fma_f16 v27, v56, s2, v27
	v_fma_f16 v54, v56, s2, v54
	v_add_f16_e32 v56, v3, v12
	v_add_f16_e32 v52, v52, v8
	v_fma_f16 v1, v56, -0.5, v1
	v_add_f16_e32 v52, v52, v11
	v_fma_f16 v56, v26, s1, v1
	v_sub_f16_e32 v3, v8, v3
	v_sub_f16_e32 v8, v11, v12
	v_add_f16_e32 v11, v31, v32
	v_add_f16_e32 v52, v52, v12
	v_fma_f16 v56, v28, s4, v56
	v_add_f16_e32 v3, v3, v8
	v_fma_f16 v1, v26, s3, v1
	v_fma_f16 v11, v11, -0.5, v7
	v_sub_f16_e32 v12, v14, v13
	v_fma_f16 v8, v3, s2, v56
	v_fma_f16 v1, v28, s0, v1
	v_fma_f16 v26, v12, s1, v11
	v_sub_f16_e32 v28, v9, v16
	v_sub_f16_e32 v56, v29, v31
	;; [unrolled: 1-line block ×3, first 2 shown]
	v_fma_f16 v11, v12, s3, v11
	v_fma_f16 v26, v28, s0, v26
	v_add_f16_e32 v56, v56, v57
	v_fma_f16 v11, v28, s4, v11
	v_lshrrev_b32_e32 v38, 16, v17
	v_fma_f16 v26, v56, s2, v26
	v_fma_f16 v11, v56, s2, v11
	v_add_f16_e32 v56, v29, v33
	v_lshrrev_b32_e32 v30, 16, v7
	ds_read2st64_b32 v[20:21], v82 offset0:154 offset1:161
	v_mul_f16_sdwa v37, v58, v38 dst_sel:DWORD dst_unused:UNUSED_PAD src0_sel:WORD_1 src1_sel:DWORD
	v_fma_f16 v1, v3, s2, v1
	v_add_f16_e32 v3, v7, v29
	v_fma_f16 v7, v56, -0.5, v7
	v_fma_f16 v37, v58, v17, v37
	v_mul_f16_sdwa v17, v58, v17 dst_sel:DWORD dst_unused:UNUSED_PAD src0_sel:WORD_1 src1_sel:DWORD
	v_add_f16_e32 v3, v3, v31
	v_fma_f16 v56, v28, s3, v7
	v_fma_f16 v7, v28, s1, v7
	v_add_f16_e32 v28, v9, v16
	v_fma_f16 v17, v58, v38, -v17
	v_add_f16_e32 v3, v3, v32
	v_sub_f16_e32 v57, v31, v29
	v_sub_f16_e32 v58, v32, v33
	v_fma_f16 v28, v28, -0.5, v30
	v_sub_f16_e32 v29, v29, v33
	v_add_f16_e32 v3, v3, v33
	v_fma_f16 v56, v12, s0, v56
	v_add_f16_e32 v57, v57, v58
	v_fma_f16 v7, v12, s4, v7
	v_fma_f16 v33, v29, s3, v28
	v_sub_f16_e32 v31, v31, v32
	ds_read2st64_b32 v[4:5], v82 offset0:14 offset1:21
	v_fma_f16 v56, v57, s2, v56
	v_fma_f16 v7, v57, s2, v7
	;; [unrolled: 1-line block ×3, first 2 shown]
	v_sub_f16_e32 v33, v14, v9
	v_sub_f16_e32 v57, v13, v16
	v_fma_f16 v28, v29, s1, v28
	s_waitcnt lgkmcnt(1)
	v_lshrrev_b32_e32 v39, 16, v20
	v_add_f16_e32 v12, v30, v14
	v_add_f16_e32 v33, v33, v57
	v_fma_f16 v28, v31, s0, v28
	v_mul_f16_sdwa v38, v59, v39 dst_sel:DWORD dst_unused:UNUSED_PAD src0_sel:WORD_1 src1_sel:DWORD
	v_add_f16_e32 v12, v12, v9
	v_fma_f16 v32, v33, s2, v32
	v_fma_f16 v28, v33, s2, v28
	v_add_f16_e32 v33, v14, v13
	ds_read2st64_b32 v[22:23], v82 offset0:56 offset1:63
	v_fma_f16 v38, v59, v20, v38
	v_mul_f16_sdwa v20, v59, v20 dst_sel:DWORD dst_unused:UNUSED_PAD src0_sel:WORD_1 src1_sel:DWORD
	v_add_f16_e32 v12, v12, v16
	v_fma_f16 v30, v33, -0.5, v30
	v_fma_f16 v20, v59, v39, -v20
	v_add_f16_e32 v12, v12, v13
	v_fma_f16 v33, v31, s1, v30
	v_sub_f16_e32 v9, v9, v14
	v_sub_f16_e32 v13, v16, v13
	v_fma_f16 v14, v31, s3, v30
	v_add_f16_e32 v16, v36, v37
	v_fma_f16 v33, v29, s4, v33
	v_add_f16_e32 v9, v9, v13
	v_fma_f16 v14, v29, s0, v14
	s_waitcnt lgkmcnt(1)
	v_fma_f16 v16, v16, -0.5, v4
	v_sub_f16_e32 v29, v15, v20
	v_fma_f16 v13, v9, s2, v33
	v_fma_f16 v30, v29, s1, v16
	v_sub_f16_e32 v31, v18, v17
	v_sub_f16_e32 v33, v34, v36
	;; [unrolled: 1-line block ×3, first 2 shown]
	v_fma_f16 v16, v29, s3, v16
	ds_read2st64_b32 v[24:25], v82 offset0:126 offset1:133
	v_fma_f16 v30, v31, s0, v30
	v_add_f16_e32 v33, v33, v57
	v_fma_f16 v16, v31, s4, v16
	s_waitcnt lgkmcnt(1)
	v_lshrrev_b32_e32 v41, 16, v22
	v_fma_f16 v30, v33, s2, v30
	v_fma_f16 v16, v33, s2, v16
	v_add_f16_e32 v33, v34, v38
	v_lshrrev_b32_e32 v35, 16, v4
	v_mul_f16_sdwa v39, v64, v41 dst_sel:DWORD dst_unused:UNUSED_PAD src0_sel:WORD_1 src1_sel:DWORD
	v_fma_f16 v9, v9, s2, v14
	v_add_f16_e32 v14, v4, v34
	v_fma_f16 v4, v33, -0.5, v4
	v_lshrrev_b32_e32 v42, 16, v19
	v_fma_f16 v39, v64, v22, v39
	v_mul_f16_sdwa v22, v64, v22 dst_sel:DWORD dst_unused:UNUSED_PAD src0_sel:WORD_1 src1_sel:DWORD
	v_add_f16_e32 v14, v14, v36
	v_fma_f16 v33, v31, s3, v4
	v_fma_f16 v4, v31, s1, v4
	v_add_f16_e32 v31, v18, v17
	v_fma_f16 v22, v64, v41, -v22
	v_mul_f16_sdwa v41, v65, v42 dst_sel:DWORD dst_unused:UNUSED_PAD src0_sel:WORD_1 src1_sel:DWORD
	v_add_f16_e32 v14, v14, v37
	v_sub_f16_e32 v57, v36, v34
	v_sub_f16_e32 v58, v37, v38
	v_fma_f16 v31, v31, -0.5, v35
	v_sub_f16_e32 v34, v34, v38
	s_waitcnt lgkmcnt(0)
	v_lshrrev_b32_e32 v43, 16, v24
	v_fma_f16 v41, v65, v19, v41
	v_mul_f16_sdwa v19, v65, v19 dst_sel:DWORD dst_unused:UNUSED_PAD src0_sel:WORD_1 src1_sel:DWORD
	v_add_f16_e32 v14, v14, v38
	v_fma_f16 v33, v29, s0, v33
	v_add_f16_e32 v57, v57, v58
	v_fma_f16 v4, v29, s4, v4
	v_fma_f16 v38, v34, s3, v31
	v_sub_f16_e32 v36, v36, v37
	v_fma_f16 v19, v65, v42, -v19
	v_mul_f16_sdwa v42, v66, v43 dst_sel:DWORD dst_unused:UNUSED_PAD src0_sel:WORD_1 src1_sel:DWORD
	v_fma_f16 v33, v57, s2, v33
	v_fma_f16 v4, v57, s2, v4
	;; [unrolled: 1-line block ×3, first 2 shown]
	v_sub_f16_e32 v38, v15, v18
	v_sub_f16_e32 v57, v20, v17
	v_fma_f16 v31, v34, s1, v31
	v_lshrrev_b32_e32 v44, 16, v21
	v_fma_f16 v42, v66, v24, v42
	v_mul_f16_sdwa v24, v66, v24 dst_sel:DWORD dst_unused:UNUSED_PAD src0_sel:WORD_1 src1_sel:DWORD
	v_add_f16_e32 v29, v35, v15
	v_add_f16_e32 v38, v38, v57
	v_fma_f16 v31, v36, s0, v31
	v_fma_f16 v24, v66, v43, -v24
	v_mul_f16_sdwa v43, v67, v44 dst_sel:DWORD dst_unused:UNUSED_PAD src0_sel:WORD_1 src1_sel:DWORD
	v_add_f16_e32 v29, v29, v18
	v_fma_f16 v37, v38, s2, v37
	v_fma_f16 v31, v38, s2, v31
	v_add_f16_e32 v38, v15, v20
	v_fma_f16 v43, v67, v21, v43
	v_mul_f16_sdwa v21, v67, v21 dst_sel:DWORD dst_unused:UNUSED_PAD src0_sel:WORD_1 src1_sel:DWORD
	v_add_f16_e32 v29, v29, v17
	v_fma_f16 v35, v38, -0.5, v35
	v_fma_f16 v21, v67, v44, -v21
	v_add_f16_e32 v29, v29, v20
	v_fma_f16 v38, v36, s1, v35
	v_sub_f16_e32 v15, v18, v15
	v_sub_f16_e32 v17, v17, v20
	v_fma_f16 v18, v36, s3, v35
	v_add_f16_e32 v20, v41, v42
	v_fma_f16 v38, v34, s4, v38
	v_add_f16_e32 v15, v15, v17
	v_fma_f16 v18, v34, s0, v18
	v_fma_f16 v20, v20, -0.5, v5
	v_sub_f16_e32 v34, v22, v21
	v_fma_f16 v17, v15, s2, v38
	v_fma_f16 v35, v34, s1, v20
	v_sub_f16_e32 v36, v19, v24
	v_sub_f16_e32 v38, v39, v41
	;; [unrolled: 1-line block ×3, first 2 shown]
	v_fma_f16 v20, v34, s3, v20
	v_fma_f16 v35, v36, s0, v35
	v_add_f16_e32 v38, v38, v57
	v_fma_f16 v20, v36, s4, v20
	v_fma_f16 v35, v38, s2, v35
	;; [unrolled: 1-line block ×3, first 2 shown]
	v_add_f16_e32 v38, v39, v43
	v_lshrrev_b32_e32 v40, 16, v5
	ds_read_b32 v45, v82 offset:43008
	v_fma_f16 v15, v15, s2, v18
	v_add_f16_e32 v18, v5, v39
	v_fma_f16 v5, v38, -0.5, v5
	v_add_f16_e32 v18, v18, v41
	v_fma_f16 v38, v36, s3, v5
	v_fma_f16 v5, v36, s1, v5
	v_add_f16_e32 v36, v19, v24
	v_add_f16_e32 v18, v18, v42
	v_sub_f16_e32 v57, v41, v39
	v_sub_f16_e32 v58, v42, v43
	v_fma_f16 v36, v36, -0.5, v40
	v_sub_f16_e32 v39, v39, v43
	v_lshrrev_b32_e32 v47, 16, v23
	v_add_f16_e32 v18, v18, v43
	v_fma_f16 v38, v34, s0, v38
	v_add_f16_e32 v57, v57, v58
	v_fma_f16 v5, v34, s4, v5
	v_fma_f16 v43, v39, s3, v36
	v_sub_f16_e32 v41, v41, v42
	v_mul_f16_sdwa v44, v60, v47 dst_sel:DWORD dst_unused:UNUSED_PAD src0_sel:WORD_1 src1_sel:DWORD
	v_fma_f16 v38, v57, s2, v38
	v_fma_f16 v5, v57, s2, v5
	;; [unrolled: 1-line block ×3, first 2 shown]
	v_sub_f16_e32 v43, v22, v19
	v_sub_f16_e32 v57, v21, v24
	v_fma_f16 v36, v39, s1, v36
	v_lshrrev_b32_e32 v68, 16, v10
	v_lshrrev_b32_e32 v69, 16, v25
	s_waitcnt lgkmcnt(0)
	v_lshrrev_b32_e32 v70, 16, v45
	v_fma_f16 v44, v60, v23, v44
	v_mul_f16_sdwa v23, v60, v23 dst_sel:DWORD dst_unused:UNUSED_PAD src0_sel:WORD_1 src1_sel:DWORD
	v_add_f16_e32 v34, v40, v22
	v_add_f16_e32 v43, v43, v57
	v_fma_f16 v36, v41, s0, v36
	v_fma_f16 v23, v60, v47, -v23
	v_mul_f16_sdwa v47, v61, v68 dst_sel:DWORD dst_unused:UNUSED_PAD src0_sel:WORD_1 src1_sel:DWORD
	v_mul_f16_sdwa v48, v62, v69 dst_sel:DWORD dst_unused:UNUSED_PAD src0_sel:WORD_1 src1_sel:DWORD
	;; [unrolled: 1-line block ×3, first 2 shown]
	v_add_f16_e32 v34, v34, v19
	v_fma_f16 v42, v43, s2, v42
	v_fma_f16 v36, v43, s2, v36
	v_add_f16_e32 v43, v22, v21
	v_fma_f16 v47, v61, v10, v47
	v_fma_f16 v48, v62, v25, v48
	;; [unrolled: 1-line block ×3, first 2 shown]
	v_mul_f16_sdwa v45, v63, v45 dst_sel:DWORD dst_unused:UNUSED_PAD src0_sel:WORD_1 src1_sel:DWORD
	v_add_f16_e32 v34, v34, v24
	v_fma_f16 v40, v43, -0.5, v40
	v_mul_f16_sdwa v10, v61, v10 dst_sel:DWORD dst_unused:UNUSED_PAD src0_sel:WORD_1 src1_sel:DWORD
	v_mul_f16_sdwa v25, v62, v25 dst_sel:DWORD dst_unused:UNUSED_PAD src0_sel:WORD_1 src1_sel:DWORD
	v_fma_f16 v45, v63, v70, -v45
	v_add_f16_e32 v34, v34, v21
	v_fma_f16 v43, v41, s1, v40
	v_sub_f16_e32 v19, v19, v22
	v_sub_f16_e32 v21, v24, v21
	v_fma_f16 v22, v41, s3, v40
	v_add_f16_e32 v24, v47, v48
	v_fma_f16 v10, v61, v68, -v10
	v_fma_f16 v25, v62, v69, -v25
	v_fma_f16 v43, v39, s4, v43
	v_add_f16_e32 v19, v19, v21
	v_fma_f16 v22, v39, s0, v22
	v_fma_f16 v24, v24, -0.5, v2
	v_sub_f16_e32 v39, v23, v45
	v_fma_f16 v21, v19, s2, v43
	v_fma_f16 v40, v39, s1, v24
	v_sub_f16_e32 v41, v10, v25
	v_sub_f16_e32 v43, v44, v47
	;; [unrolled: 1-line block ×3, first 2 shown]
	v_fma_f16 v24, v39, s3, v24
	v_fma_f16 v40, v41, s0, v40
	v_add_f16_e32 v43, v43, v57
	v_fma_f16 v24, v41, s4, v24
	v_fma_f16 v40, v43, s2, v40
	v_fma_f16 v24, v43, s2, v24
	v_add_f16_e32 v43, v44, v49
	v_lshrrev_b32_e32 v46, 16, v2
	v_fma_f16 v19, v19, s2, v22
	v_add_f16_e32 v22, v2, v44
	v_fma_f16 v2, v43, -0.5, v2
	v_add_f16_e32 v22, v22, v47
	v_fma_f16 v43, v41, s3, v2
	v_fma_f16 v2, v41, s1, v2
	v_add_f16_e32 v41, v10, v25
	v_add_f16_e32 v22, v22, v48
	v_sub_f16_e32 v57, v47, v44
	v_sub_f16_e32 v58, v48, v49
	v_fma_f16 v41, v41, -0.5, v46
	v_sub_f16_e32 v44, v44, v49
	v_add_f16_e32 v22, v22, v49
	v_fma_f16 v43, v39, s0, v43
	v_add_f16_e32 v57, v57, v58
	v_fma_f16 v2, v39, s4, v2
	v_fma_f16 v49, v44, s3, v41
	v_sub_f16_e32 v47, v47, v48
	v_fma_f16 v43, v57, s2, v43
	v_fma_f16 v2, v57, s2, v2
	;; [unrolled: 1-line block ×3, first 2 shown]
	v_sub_f16_e32 v49, v23, v10
	v_sub_f16_e32 v57, v45, v25
	v_fma_f16 v41, v44, s1, v41
	v_add_f16_e32 v49, v49, v57
	v_fma_f16 v41, v47, s0, v41
	v_add_f16_e32 v39, v46, v23
	v_fma_f16 v48, v49, s2, v48
	v_fma_f16 v41, v49, s2, v41
	v_add_f16_e32 v49, v23, v45
	v_add_f16_e32 v39, v39, v10
	v_fma_f16 v46, v49, -0.5, v46
	v_add_f16_e32 v39, v39, v25
	v_fma_f16 v49, v47, s1, v46
	v_sub_f16_e32 v10, v10, v23
	v_sub_f16_e32 v23, v25, v45
	v_fma_f16 v25, v47, s3, v46
	v_pack_b32_f16 v1, v6, v1
	v_fma_f16 v49, v44, s4, v49
	v_add_f16_e32 v10, v10, v23
	v_fma_f16 v25, v44, s0, v25
	ds_write_b32 v82, v1 offset:26880
	v_pack_b32_f16 v1, v51, v54
	v_fma_f16 v23, v10, s2, v49
	v_fma_f16 v10, v10, s2, v25
	v_pack_b32_f16 v25, v50, v52
	v_pack_b32_f16 v27, v53, v27
	;; [unrolled: 1-line block ×3, first 2 shown]
	ds_write_b32 v82, v1 offset:35840
	v_pack_b32_f16 v1, v3, v12
	ds_write_b32 v82, v27 offset:8960
	ds_write_b32 v82, v8 offset:17920
	ds_write2st64_b32 v82, v25, v1 offset1:7
	v_pack_b32_f16 v1, v26, v32
	v_pack_b32_f16 v6, v7, v9
	;; [unrolled: 1-line block ×4, first 2 shown]
	ds_write2st64_b32 v82, v1, v9 offset0:42 offset1:49
	v_pack_b32_f16 v1, v33, v17
	ds_write2st64_b32 v82, v3, v1 offset0:77 offset1:84
	v_pack_b32_f16 v1, v4, v15
	v_pack_b32_f16 v7, v11, v28
	ds_write2st64_b32 v82, v6, v1 offset0:112 offset1:119
	v_pack_b32_f16 v1, v16, v31
	;; [unrolled: 3-line block ×3, first 2 shown]
	v_pack_b32_f16 v3, v38, v21
	ds_write2st64_b32 v82, v8, v1 offset0:14 offset1:21
	ds_write_b32 v82, v3 offset:23296
	v_pack_b32_f16 v3, v5, v19
	v_add_f16_e32 v39, v39, v45
	ds_write_b32 v82, v3 offset:32256
	v_pack_b32_f16 v3, v20, v36
	ds_write_b32 v82, v3 offset:41216
	v_pack_b32_f16 v3, v22, v39
	v_pack_b32_f16 v1, v35, v42
	ds_write_b32 v82, v3 offset:7168
	v_pack_b32_f16 v3, v40, v48
	ds_write2st64_b32 v82, v1, v3 offset0:56 offset1:63
	v_pack_b32_f16 v1, v43, v23
	ds_write_b32 v82, v1 offset:25088
	v_pack_b32_f16 v1, v2, v10
	ds_write_b32 v82, v1 offset:34048
	;; [unrolled: 2-line block ×3, first 2 shown]
	s_waitcnt lgkmcnt(0)
	s_barrier
	ds_read2st64_b32 v[2:3], v82 offset1:7
	v_mad_u64_u32 v[6:7], s[0:1], s10, v86, 0
	v_mov_b32_e32 v4, v7
	s_movk_i32 s17, 0x1ff
	s_waitcnt lgkmcnt(0)
	v_lshrrev_b32_e32 v9, 16, v2
	v_mul_f16_sdwa v5, v133, v9 dst_sel:DWORD dst_unused:UNUSED_PAD src0_sel:WORD_1 src1_sel:DWORD
	v_fma_f16 v5, v133, v2, v5
	v_cvt_f32_f16_e32 v8, v5
	v_mad_u64_u32 v[4:5], s[0:1], s11, v86, v[4:5]
	s_mov_b32 s10, 0xe434a9b1
	v_mov_b32_e32 v7, v4
	v_cvt_f64_f32_e32 v[4:5], v8
	s_mov_b32 s11, 0x3f1767dc
	v_mul_f64 v[4:5], v[4:5], s[10:11]
	v_and_or_b32 v4, v5, s17, v4
	v_cmp_ne_u32_e32 vcc, 0, v4
	v_lshrrev_b32_e32 v8, 8, v5
	s_movk_i32 s16, 0xffe
	v_cndmask_b32_e64 v4, 0, 1, vcc
	v_bfe_u32 v10, v5, 20, 11
	v_and_or_b32 v4, v8, s16, v4
	v_sub_u32_e32 v11, 0x3f1, v10
	v_or_b32_e32 v8, 0x1000, v4
	v_med3_i32 v11, v11, 0, 13
	v_lshrrev_b32_e32 v12, v11, v8
	v_lshlrev_b32_e32 v11, v11, v12
	v_cmp_ne_u32_e32 vcc, v11, v8
	v_add_u32_e32 v10, 0xfffffc10, v10
	v_lshl_or_b32 v11, v10, 12, v4
	v_cndmask_b32_e64 v8, 0, 1, vcc
	v_or_b32_e32 v8, v12, v8
	v_cmp_gt_i32_e32 vcc, 1, v10
	v_mul_f16_sdwa v2, v133, v2 dst_sel:DWORD dst_unused:UNUSED_PAD src0_sel:WORD_1 src1_sel:DWORD
	v_fma_f16 v2, v133, v9, -v2
	v_cndmask_b32_e32 v8, v11, v8, vcc
	v_and_b32_e32 v11, 7, v8
	v_cmp_lt_i32_e32 vcc, 5, v11
	v_cmp_eq_u32_e64 s[0:1], 3, v11
	v_lshrrev_b32_e32 v8, 2, v8
	s_or_b64 vcc, s[0:1], vcc
	v_addc_co_u32_e32 v11, vcc, 0, v8, vcc
	v_mov_b32_e32 v8, 0x7c00
	v_cmp_gt_i32_e32 vcc, 31, v10
	v_cvt_f32_f16_e32 v2, v2
	s_movk_i32 s14, 0x40f
	v_cndmask_b32_e32 v11, v8, v11, vcc
	v_cmp_ne_u32_e32 vcc, 0, v4
	s_mov_b32 s15, 0x8000
	v_and_b32_sdwa v15, v5, s15 dst_sel:DWORD dst_unused:UNUSED_PAD src0_sel:WORD_1 src1_sel:DWORD
	v_cndmask_b32_e64 v4, 0, 1, vcc
	v_lshl_or_b32 v4, v4, 9, v8
	v_cmp_eq_u32_e32 vcc, s14, v10
	v_mov_b32_e32 v0, s12
	v_mov_b32_e32 v1, s13
	v_cndmask_b32_e32 v14, v11, v4, vcc
	v_cvt_f64_f32_e32 v[4:5], v2
	v_mul_f64 v[4:5], v[4:5], s[10:11]
	v_and_or_b32 v2, v5, s17, v4
	v_cmp_ne_u32_e32 vcc, 0, v2
	v_lshrrev_b32_e32 v4, 8, v5
	v_bfe_u32 v9, v5, 20, 11
	v_cndmask_b32_e64 v2, 0, 1, vcc
	v_and_or_b32 v2, v4, s16, v2
	v_sub_u32_e32 v10, 0x3f1, v9
	v_or_b32_e32 v4, 0x1000, v2
	v_med3_i32 v10, v10, 0, 13
	v_lshrrev_b32_e32 v11, v10, v4
	v_lshlrev_b32_e32 v10, v10, v11
	v_cmp_ne_u32_e32 vcc, v10, v4
	v_add_u32_e32 v9, 0xfffffc10, v9
	v_lshl_or_b32 v10, v9, 12, v2
	v_cndmask_b32_e64 v4, 0, 1, vcc
	v_or_b32_e32 v4, v11, v4
	v_cmp_gt_i32_e32 vcc, 1, v9
	v_lshl_add_u64 v[0:1], v[6:7], 2, v[0:1]
	s_mov_b32 s18, 0xffff
	v_cndmask_b32_e32 v4, v10, v4, vcc
	v_and_b32_e32 v10, 7, v4
	v_cmp_lt_i32_e32 vcc, 5, v10
	v_cmp_eq_u32_e64 s[0:1], 3, v10
	v_lshrrev_b32_e32 v4, 2, v4
	s_or_b64 vcc, s[0:1], vcc
	v_addc_co_u32_e32 v4, vcc, 0, v4, vcc
	v_cmp_gt_i32_e32 vcc, 31, v9
	v_mad_u64_u32 v[10:11], s[0:1], s8, v84, 0
	s_nop 0
	v_cndmask_b32_e32 v4, v8, v4, vcc
	v_cmp_ne_u32_e32 vcc, 0, v2
	s_mul_i32 s2, s8, 0xffffe0f0
	s_nop 0
	v_cndmask_b32_e64 v2, 0, 1, vcc
	v_lshl_or_b32 v2, v2, 9, v8
	v_cmp_eq_u32_e32 vcc, s14, v9
	v_add_u32_e32 v9, 0xc0, v82
	s_nop 0
	v_cndmask_b32_e32 v2, v4, v2, vcc
	v_lshrrev_b32_e32 v4, 16, v5
	v_and_or_b32 v16, v4, s15, v2
	ds_read2st64_b32 v[4:5], v9 offset0:43 offset1:50
	v_mov_b32_e32 v2, v11
	v_mad_u64_u32 v[12:13], s[0:1], s9, v84, v[2:3]
	v_mov_b32_e32 v11, v12
	s_waitcnt lgkmcnt(0)
	v_lshrrev_b32_e32 v12, 16, v4
	v_mul_f16_sdwa v13, v132, v12 dst_sel:DWORD dst_unused:UNUSED_PAD src0_sel:WORD_1 src1_sel:DWORD
	v_fma_f16 v13, v132, v4, v13
	v_cvt_f32_f16_e32 v13, v13
	v_lshl_add_u64 v[6:7], v[10:11], 2, v[0:1]
	v_bitop3_b32 v2, v15, s18, v14 bitop3:0xc8
	v_lshl_or_b32 v2, v16, 16, v2
	v_cvt_f64_f32_e32 v[0:1], v13
	v_mul_f64 v[0:1], v[0:1], s[10:11]
	v_and_or_b32 v0, v1, s17, v0
	v_cmp_ne_u32_e32 vcc, 0, v0
	global_store_dword v[6:7], v2, off
	v_lshrrev_b32_e32 v2, 8, v1
	v_cndmask_b32_e64 v0, 0, 1, vcc
	v_bfe_u32 v10, v1, 20, 11
	v_and_or_b32 v0, v2, s16, v0
	v_sub_u32_e32 v11, 0x3f1, v10
	v_or_b32_e32 v2, 0x1000, v0
	v_med3_i32 v11, v11, 0, 13
	v_lshrrev_b32_e32 v13, v11, v2
	v_lshlrev_b32_e32 v11, v11, v13
	v_cmp_ne_u32_e32 vcc, v11, v2
	v_add_u32_e32 v10, 0xfffffc10, v10
	v_lshl_or_b32 v11, v10, 12, v0
	v_cndmask_b32_e64 v2, 0, 1, vcc
	v_or_b32_e32 v2, v13, v2
	v_cmp_gt_i32_e32 vcc, 1, v10
	v_mul_f16_sdwa v4, v132, v4 dst_sel:DWORD dst_unused:UNUSED_PAD src0_sel:WORD_1 src1_sel:DWORD
	v_fma_f16 v4, v132, v12, -v4
	v_cndmask_b32_e32 v2, v11, v2, vcc
	v_and_b32_e32 v11, 7, v2
	v_cmp_lt_i32_e32 vcc, 5, v11
	v_cmp_eq_u32_e64 s[0:1], 3, v11
	v_lshrrev_b32_e32 v2, 2, v2
	s_or_b64 vcc, s[0:1], vcc
	v_addc_co_u32_e32 v2, vcc, 0, v2, vcc
	v_cmp_gt_i32_e32 vcc, 31, v10
	v_cvt_f32_f16_e32 v4, v4
	v_and_b32_sdwa v11, v1, s15 dst_sel:DWORD dst_unused:UNUSED_PAD src0_sel:WORD_1 src1_sel:DWORD
	v_cndmask_b32_e32 v2, v8, v2, vcc
	v_cmp_ne_u32_e32 vcc, 0, v0
	s_nop 1
	v_cndmask_b32_e64 v0, 0, 1, vcc
	v_lshl_or_b32 v0, v0, 9, v8
	v_cmp_eq_u32_e32 vcc, s14, v10
	s_nop 1
	v_cndmask_b32_e32 v2, v2, v0, vcc
	v_cvt_f64_f32_e32 v[0:1], v4
	v_mul_f64 v[0:1], v[0:1], s[10:11]
	v_and_or_b32 v0, v1, s17, v0
	v_cmp_ne_u32_e32 vcc, 0, v0
	v_lshrrev_b32_e32 v4, 8, v1
	v_bfe_u32 v10, v1, 20, 11
	v_cndmask_b32_e64 v0, 0, 1, vcc
	v_and_or_b32 v0, v4, s16, v0
	v_sub_u32_e32 v12, 0x3f1, v10
	v_or_b32_e32 v4, 0x1000, v0
	v_med3_i32 v12, v12, 0, 13
	v_lshrrev_b32_e32 v13, v12, v4
	v_lshlrev_b32_e32 v12, v12, v13
	v_cmp_ne_u32_e32 vcc, v12, v4
	v_add_u32_e32 v10, 0xfffffc10, v10
	v_lshl_or_b32 v12, v10, 12, v0
	v_cndmask_b32_e64 v4, 0, 1, vcc
	v_or_b32_e32 v4, v13, v4
	v_cmp_gt_i32_e32 vcc, 1, v10
	v_lshrrev_b32_e32 v1, 16, v1
	v_bitop3_b32 v2, v11, s18, v2 bitop3:0xc8
	v_cndmask_b32_e32 v4, v12, v4, vcc
	v_and_b32_e32 v12, 7, v4
	v_cmp_lt_i32_e32 vcc, 5, v12
	v_cmp_eq_u32_e64 s[0:1], 3, v12
	v_lshrrev_b32_e32 v4, 2, v4
	s_or_b64 vcc, s[0:1], vcc
	v_addc_co_u32_e32 v4, vcc, 0, v4, vcc
	v_cmp_gt_i32_e32 vcc, 31, v10
	s_mul_i32 s0, s9, 0xaf0
	s_mul_hi_u32 s1, s8, 0xaf0
	v_cndmask_b32_e32 v4, v8, v4, vcc
	v_cmp_ne_u32_e32 vcc, 0, v0
	s_add_i32 s1, s1, s0
	s_mul_i32 s0, s8, 0xaf0
	v_cndmask_b32_e64 v0, 0, 1, vcc
	v_lshl_or_b32 v0, v0, 9, v8
	v_cmp_eq_u32_e32 vcc, s14, v10
	v_add_u32_e32 v10, 0x80, v82
	s_lshl_b64 s[12:13], s[0:1], 2
	v_cndmask_b32_e32 v0, v4, v0, vcc
	v_and_or_b32 v4, v1, s15, v0
	ds_read2st64_b32 v[0:1], v10 offset0:87 offset1:94
	v_lshl_or_b32 v2, v4, 16, v2
	v_lshl_add_u64 v[12:13], v[6:7], 0, s[12:13]
	global_store_dword v[12:13], v2, off
	v_lshl_add_u64 v[12:13], v[12:13], 0, s[12:13]
	s_waitcnt lgkmcnt(0)
	v_lshrrev_b32_e32 v4, 16, v0
	v_mul_f16_sdwa v11, v131, v4 dst_sel:DWORD dst_unused:UNUSED_PAD src0_sel:WORD_1 src1_sel:DWORD
	v_fma_f16 v11, v131, v0, v11
	v_cvt_f32_f16_e32 v11, v11
	v_mul_f16_sdwa v0, v131, v0 dst_sel:DWORD dst_unused:UNUSED_PAD src0_sel:WORD_1 src1_sel:DWORD
	v_fma_f16 v0, v131, v4, -v0
	v_cvt_f32_f16_e32 v0, v0
	v_cvt_f64_f32_e32 v[6:7], v11
	v_mul_f64 v[6:7], v[6:7], s[10:11]
	v_and_or_b32 v2, v7, s17, v6
	v_cmp_ne_u32_e32 vcc, 0, v2
	v_lshrrev_b32_e32 v6, 8, v7
	v_bfe_u32 v11, v7, 20, 11
	v_cndmask_b32_e64 v2, 0, 1, vcc
	v_and_or_b32 v2, v6, s16, v2
	v_sub_u32_e32 v14, 0x3f1, v11
	v_or_b32_e32 v6, 0x1000, v2
	v_med3_i32 v14, v14, 0, 13
	v_lshrrev_b32_e32 v15, v14, v6
	v_lshlrev_b32_e32 v14, v14, v15
	v_cmp_ne_u32_e32 vcc, v14, v6
	v_add_u32_e32 v11, 0xfffffc10, v11
	v_lshl_or_b32 v14, v11, 12, v2
	v_cndmask_b32_e64 v6, 0, 1, vcc
	v_or_b32_e32 v6, v15, v6
	v_cmp_gt_i32_e32 vcc, 1, v11
	v_and_b32_sdwa v4, v7, s15 dst_sel:DWORD dst_unused:UNUSED_PAD src0_sel:WORD_1 src1_sel:DWORD
	s_nop 0
	v_cndmask_b32_e32 v6, v14, v6, vcc
	v_and_b32_e32 v14, 7, v6
	v_cmp_lt_i32_e32 vcc, 5, v14
	v_cmp_eq_u32_e64 s[0:1], 3, v14
	v_lshrrev_b32_e32 v6, 2, v6
	s_or_b64 vcc, s[0:1], vcc
	v_addc_co_u32_e32 v6, vcc, 0, v6, vcc
	v_cmp_gt_i32_e32 vcc, 31, v11
	s_nop 1
	v_cndmask_b32_e32 v6, v8, v6, vcc
	v_cmp_ne_u32_e32 vcc, 0, v2
	s_nop 1
	v_cndmask_b32_e64 v2, 0, 1, vcc
	v_lshl_or_b32 v2, v2, 9, v8
	v_cmp_eq_u32_e32 vcc, s14, v11
	s_nop 1
	v_cndmask_b32_e32 v2, v6, v2, vcc
	v_cvt_f64_f32_e32 v[6:7], v0
	v_mul_f64 v[14:15], v[6:7], s[10:11]
	v_and_or_b32 v0, v15, s17, v14
	v_cmp_ne_u32_e32 vcc, 0, v0
	v_lshrrev_b32_e32 v6, 8, v15
	v_bfe_u32 v7, v15, 20, 11
	v_cndmask_b32_e64 v0, 0, 1, vcc
	v_and_or_b32 v0, v6, s16, v0
	v_sub_u32_e32 v11, 0x3f1, v7
	v_or_b32_e32 v6, 0x1000, v0
	v_med3_i32 v11, v11, 0, 13
	v_lshrrev_b32_e32 v14, v11, v6
	v_lshlrev_b32_e32 v11, v11, v14
	v_cmp_ne_u32_e32 vcc, v11, v6
	v_add_u32_e32 v11, 64, v82
	v_bitop3_b32 v2, v4, s18, v2 bitop3:0xc8
	v_cndmask_b32_e64 v6, 0, 1, vcc
	v_or_b32_e32 v6, v14, v6
	v_add_u32_e32 v14, 0xfffffc10, v7
	v_lshl_or_b32 v7, v14, 12, v0
	v_cmp_gt_i32_e32 vcc, 1, v14
	s_nop 1
	v_cndmask_b32_e32 v6, v7, v6, vcc
	v_and_b32_e32 v7, 7, v6
	v_cmp_lt_i32_e32 vcc, 5, v7
	v_cmp_eq_u32_e64 s[0:1], 3, v7
	v_lshrrev_b32_e32 v6, 2, v6
	s_or_b64 vcc, s[0:1], vcc
	v_addc_co_u32_e32 v6, vcc, 0, v6, vcc
	v_cmp_gt_i32_e32 vcc, 31, v14
	s_nop 1
	v_cndmask_b32_e32 v16, v8, v6, vcc
	ds_read2st64_b32 v[6:7], v11 offset0:131 offset1:138
	v_cmp_ne_u32_e32 vcc, 0, v0
	s_waitcnt lgkmcnt(0)
	v_lshrrev_b32_e32 v4, 16, v6
	v_cndmask_b32_e64 v0, 0, 1, vcc
	v_lshl_or_b32 v0, v0, 9, v8
	v_cmp_eq_u32_e32 vcc, s14, v14
	v_lshrrev_b32_e32 v14, 16, v15
	s_nop 0
	v_cndmask_b32_e32 v0, v16, v0, vcc
	v_and_or_b32 v0, v14, s15, v0
	v_mul_f16_sdwa v14, v130, v4 dst_sel:DWORD dst_unused:UNUSED_PAD src0_sel:WORD_1 src1_sel:DWORD
	v_fma_f16 v14, v130, v6, v14
	v_cvt_f32_f16_e32 v14, v14
	v_lshl_or_b32 v0, v0, 16, v2
	global_store_dword v[12:13], v0, off
	v_mul_f16_sdwa v6, v130, v6 dst_sel:DWORD dst_unused:UNUSED_PAD src0_sel:WORD_1 src1_sel:DWORD
	v_cvt_f64_f32_e32 v[14:15], v14
	v_mul_f64 v[14:15], v[14:15], s[10:11]
	v_and_or_b32 v0, v15, s17, v14
	v_cmp_ne_u32_e32 vcc, 0, v0
	v_lshrrev_b32_e32 v2, 8, v15
	v_bfe_u32 v14, v15, 20, 11
	v_cndmask_b32_e64 v0, 0, 1, vcc
	v_and_or_b32 v0, v2, s16, v0
	v_sub_u32_e32 v16, 0x3f1, v14
	v_or_b32_e32 v2, 0x1000, v0
	v_med3_i32 v16, v16, 0, 13
	v_lshrrev_b32_e32 v17, v16, v2
	v_lshlrev_b32_e32 v16, v16, v17
	v_cmp_ne_u32_e32 vcc, v16, v2
	v_add_u32_e32 v14, 0xfffffc10, v14
	v_lshl_or_b32 v16, v14, 12, v0
	v_cndmask_b32_e64 v2, 0, 1, vcc
	v_or_b32_e32 v2, v17, v2
	v_cmp_gt_i32_e32 vcc, 1, v14
	v_fma_f16 v4, v130, v4, -v6
	v_cvt_f32_f16_e32 v4, v4
	v_cndmask_b32_e32 v2, v16, v2, vcc
	v_and_b32_e32 v16, 7, v2
	v_cmp_lt_i32_e32 vcc, 5, v16
	v_cmp_eq_u32_e64 s[0:1], 3, v16
	v_lshrrev_b32_e32 v2, 2, v2
	s_or_b64 vcc, s[0:1], vcc
	v_addc_co_u32_e32 v2, vcc, 0, v2, vcc
	v_cmp_gt_i32_e32 vcc, 31, v14
	v_lshl_add_u64 v[12:13], v[12:13], 0, s[12:13]
	s_nop 0
	v_cndmask_b32_e32 v2, v8, v2, vcc
	v_cmp_ne_u32_e32 vcc, 0, v0
	s_nop 1
	v_cndmask_b32_e64 v0, 0, 1, vcc
	v_lshl_or_b32 v0, v0, 9, v8
	v_cmp_eq_u32_e32 vcc, s14, v14
	s_nop 1
	v_cndmask_b32_e32 v0, v2, v0, vcc
	v_and_b32_sdwa v2, v15, s15 dst_sel:DWORD dst_unused:UNUSED_PAD src0_sel:WORD_1 src1_sel:DWORD
	v_cvt_f64_f32_e32 v[14:15], v4
	v_mul_f64 v[14:15], v[14:15], s[10:11]
	v_and_or_b32 v4, v15, s17, v14
	v_cmp_ne_u32_e32 vcc, 0, v4
	v_lshrrev_b32_e32 v6, 8, v15
	v_bfe_u32 v14, v15, 20, 11
	v_cndmask_b32_e64 v4, 0, 1, vcc
	v_and_or_b32 v4, v6, s16, v4
	v_sub_u32_e32 v16, 0x3f1, v14
	v_or_b32_e32 v6, 0x1000, v4
	v_med3_i32 v16, v16, 0, 13
	v_lshrrev_b32_e32 v17, v16, v6
	v_lshlrev_b32_e32 v16, v16, v17
	v_cmp_ne_u32_e32 vcc, v16, v6
	v_add_u32_e32 v14, 0xfffffc10, v14
	v_lshl_or_b32 v16, v14, 12, v4
	v_cndmask_b32_e64 v6, 0, 1, vcc
	v_or_b32_e32 v6, v17, v6
	v_cmp_gt_i32_e32 vcc, 1, v14
	v_bitop3_b32 v0, v2, s18, v0 bitop3:0xc8
	v_lshrrev_b32_e32 v2, 16, v3
	v_cndmask_b32_e32 v6, v16, v6, vcc
	v_and_b32_e32 v16, 7, v6
	v_cmp_lt_i32_e32 vcc, 5, v16
	v_cmp_eq_u32_e64 s[0:1], 3, v16
	v_lshrrev_b32_e32 v6, 2, v6
	s_or_b64 vcc, s[0:1], vcc
	v_addc_co_u32_e32 v6, vcc, 0, v6, vcc
	v_cmp_gt_i32_e32 vcc, 31, v14
	s_nop 1
	v_cndmask_b32_e32 v6, v8, v6, vcc
	v_cmp_ne_u32_e32 vcc, 0, v4
	s_nop 1
	v_cndmask_b32_e64 v4, 0, 1, vcc
	v_lshl_or_b32 v4, v4, 9, v8
	v_cmp_eq_u32_e32 vcc, s14, v14
	s_nop 1
	v_cndmask_b32_e32 v4, v6, v4, vcc
	v_lshrrev_b32_e32 v6, 16, v15
	v_and_or_b32 v4, v6, s15, v4
	v_mul_f16_sdwa v6, v129, v2 dst_sel:DWORD dst_unused:UNUSED_PAD src0_sel:WORD_1 src1_sel:DWORD
	v_fma_f16 v6, v129, v3, v6
	v_cvt_f32_f16_e32 v6, v6
	v_lshl_or_b32 v0, v4, 16, v0
	global_store_dword v[12:13], v0, off
	v_mul_f16_sdwa v3, v129, v3 dst_sel:DWORD dst_unused:UNUSED_PAD src0_sel:WORD_1 src1_sel:DWORD
	v_cvt_f64_f32_e32 v[14:15], v6
	v_mul_f64 v[14:15], v[14:15], s[10:11]
	v_and_or_b32 v0, v15, s17, v14
	v_cmp_ne_u32_e32 vcc, 0, v0
	v_lshrrev_b32_e32 v4, 8, v15
	v_bfe_u32 v6, v15, 20, 11
	v_cndmask_b32_e64 v0, 0, 1, vcc
	v_and_or_b32 v0, v4, s16, v0
	v_sub_u32_e32 v14, 0x3f1, v6
	v_or_b32_e32 v4, 0x1000, v0
	v_med3_i32 v14, v14, 0, 13
	v_lshrrev_b32_e32 v16, v14, v4
	v_lshlrev_b32_e32 v14, v14, v16
	v_cmp_ne_u32_e32 vcc, v14, v4
	v_add_u32_e32 v6, 0xfffffc10, v6
	v_lshl_or_b32 v14, v6, 12, v0
	v_cndmask_b32_e64 v4, 0, 1, vcc
	v_or_b32_e32 v4, v16, v4
	v_cmp_gt_i32_e32 vcc, 1, v6
	v_fma_f16 v2, v129, v2, -v3
	v_cvt_f32_f16_e32 v2, v2
	v_cndmask_b32_e32 v4, v14, v4, vcc
	v_and_b32_e32 v14, 7, v4
	v_cmp_lt_i32_e32 vcc, 5, v14
	v_cmp_eq_u32_e64 s[0:1], 3, v14
	v_lshrrev_b32_e32 v4, 2, v4
	s_or_b64 vcc, s[0:1], vcc
	v_addc_co_u32_e32 v4, vcc, 0, v4, vcc
	v_cmp_gt_i32_e32 vcc, 31, v6
	v_cvt_f64_f32_e32 v[2:3], v2
	v_mul_f64 v[2:3], v[2:3], s[10:11]
	v_cndmask_b32_e32 v4, v8, v4, vcc
	v_cmp_ne_u32_e32 vcc, 0, v0
	v_and_or_b32 v2, v3, s17, v2
	v_bfe_u32 v14, v3, 20, 11
	v_cndmask_b32_e64 v0, 0, 1, vcc
	v_lshl_or_b32 v0, v0, 9, v8
	v_cmp_eq_u32_e32 vcc, s14, v6
	v_lshrrev_b32_e32 v6, 8, v3
	v_lshrrev_b32_e32 v3, 16, v3
	v_cndmask_b32_e32 v0, v4, v0, vcc
	v_cmp_ne_u32_e32 vcc, 0, v2
	v_and_b32_sdwa v4, v15, s15 dst_sel:DWORD dst_unused:UNUSED_PAD src0_sel:WORD_1 src1_sel:DWORD
	v_sub_u32_e32 v15, 0x3f1, v14
	v_cndmask_b32_e64 v2, 0, 1, vcc
	v_and_or_b32 v2, v6, s16, v2
	v_or_b32_e32 v6, 0x1000, v2
	v_med3_i32 v15, v15, 0, 13
	v_lshrrev_b32_e32 v16, v15, v6
	v_lshlrev_b32_e32 v15, v15, v16
	v_cmp_ne_u32_e32 vcc, v15, v6
	v_add_u32_e32 v14, 0xfffffc10, v14
	v_lshl_or_b32 v15, v14, 12, v2
	v_cndmask_b32_e64 v6, 0, 1, vcc
	v_or_b32_e32 v6, v16, v6
	v_cmp_gt_i32_e32 vcc, 1, v14
	v_bitop3_b32 v0, v4, s18, v0 bitop3:0xc8
	v_lshrrev_b32_e32 v4, 16, v5
	v_cndmask_b32_e32 v6, v15, v6, vcc
	v_and_b32_e32 v15, 7, v6
	v_cmp_lt_i32_e32 vcc, 5, v15
	v_cmp_eq_u32_e64 s[0:1], 3, v15
	v_lshrrev_b32_e32 v6, 2, v6
	s_or_b64 vcc, s[0:1], vcc
	v_addc_co_u32_e32 v6, vcc, 0, v6, vcc
	v_cmp_gt_i32_e32 vcc, 31, v14
	s_mul_hi_u32 s1, s8, 0xffffe0f0
	s_mul_i32 s0, s9, 0xffffe0f0
	v_cndmask_b32_e32 v6, v8, v6, vcc
	v_cmp_ne_u32_e32 vcc, 0, v2
	s_sub_i32 s1, s1, s8
	s_add_i32 s3, s1, s0
	v_cndmask_b32_e64 v2, 0, 1, vcc
	v_lshl_or_b32 v2, v2, 9, v8
	v_cmp_eq_u32_e32 vcc, s14, v14
	s_lshl_b64 s[4:5], s[2:3], 2
	s_nop 0
	v_cndmask_b32_e32 v2, v6, v2, vcc
	v_and_or_b32 v2, v3, s15, v2
	v_lshl_or_b32 v0, v2, 16, v0
	v_mul_f16_sdwa v2, v127, v4 dst_sel:DWORD dst_unused:UNUSED_PAD src0_sel:WORD_1 src1_sel:DWORD
	v_fma_f16 v2, v127, v5, v2
	v_cvt_f32_f16_e32 v6, v2
	v_lshl_add_u64 v[2:3], v[12:13], 0, s[4:5]
	global_store_dword v[2:3], v0, off
	v_mul_f16_sdwa v5, v127, v5 dst_sel:DWORD dst_unused:UNUSED_PAD src0_sel:WORD_1 src1_sel:DWORD
	v_cvt_f64_f32_e32 v[12:13], v6
	v_mul_f64 v[12:13], v[12:13], s[10:11]
	v_and_or_b32 v0, v13, s17, v12
	v_cmp_ne_u32_e32 vcc, 0, v0
	v_lshrrev_b32_e32 v6, 8, v13
	v_bfe_u32 v12, v13, 20, 11
	v_cndmask_b32_e64 v0, 0, 1, vcc
	v_and_or_b32 v0, v6, s16, v0
	v_sub_u32_e32 v14, 0x3f1, v12
	v_or_b32_e32 v6, 0x1000, v0
	v_med3_i32 v14, v14, 0, 13
	v_lshrrev_b32_e32 v15, v14, v6
	v_lshlrev_b32_e32 v14, v14, v15
	v_cmp_ne_u32_e32 vcc, v14, v6
	v_add_u32_e32 v12, 0xfffffc10, v12
	v_lshl_or_b32 v14, v12, 12, v0
	v_cndmask_b32_e64 v6, 0, 1, vcc
	v_or_b32_e32 v6, v15, v6
	v_cmp_gt_i32_e32 vcc, 1, v12
	v_fma_f16 v4, v127, v4, -v5
	v_cvt_f32_f16_e32 v4, v4
	v_cndmask_b32_e32 v6, v14, v6, vcc
	v_and_b32_e32 v14, 7, v6
	v_cmp_lt_i32_e32 vcc, 5, v14
	v_cmp_eq_u32_e64 s[0:1], 3, v14
	v_lshrrev_b32_e32 v6, 2, v6
	s_or_b64 vcc, s[0:1], vcc
	v_addc_co_u32_e32 v6, vcc, 0, v6, vcc
	v_cmp_gt_i32_e32 vcc, 31, v12
	v_cvt_f64_f32_e32 v[4:5], v4
	v_mul_f64 v[4:5], v[4:5], s[10:11]
	v_cndmask_b32_e32 v6, v8, v6, vcc
	v_cmp_ne_u32_e32 vcc, 0, v0
	v_and_or_b32 v4, v5, s17, v4
	v_lshl_add_u64 v[2:3], v[2:3], 0, s[12:13]
	v_cndmask_b32_e64 v0, 0, 1, vcc
	v_lshl_or_b32 v0, v0, 9, v8
	v_cmp_eq_u32_e32 vcc, s14, v12
	v_lshrrev_b32_e32 v12, 8, v5
	s_nop 0
	v_cndmask_b32_e32 v0, v6, v0, vcc
	v_cmp_ne_u32_e32 vcc, 0, v4
	v_and_b32_sdwa v6, v13, s15 dst_sel:DWORD dst_unused:UNUSED_PAD src0_sel:WORD_1 src1_sel:DWORD
	v_bfe_u32 v13, v5, 20, 11
	v_cndmask_b32_e64 v4, 0, 1, vcc
	v_and_or_b32 v4, v12, s16, v4
	v_sub_u32_e32 v14, 0x3f1, v13
	v_or_b32_e32 v12, 0x1000, v4
	v_med3_i32 v14, v14, 0, 13
	v_lshrrev_b32_e32 v15, v14, v12
	v_lshlrev_b32_e32 v14, v14, v15
	v_cmp_ne_u32_e32 vcc, v14, v12
	v_add_u32_e32 v13, 0xfffffc10, v13
	v_lshl_or_b32 v14, v13, 12, v4
	v_cndmask_b32_e64 v12, 0, 1, vcc
	v_or_b32_e32 v12, v15, v12
	v_cmp_gt_i32_e32 vcc, 1, v13
	v_lshrrev_b32_e32 v5, 16, v5
	v_bitop3_b32 v0, v6, s18, v0 bitop3:0xc8
	v_cndmask_b32_e32 v12, v14, v12, vcc
	v_and_b32_e32 v14, 7, v12
	v_cmp_lt_i32_e32 vcc, 5, v14
	v_cmp_eq_u32_e64 s[0:1], 3, v14
	v_lshrrev_b32_e32 v12, 2, v12
	s_or_b64 vcc, s[0:1], vcc
	v_addc_co_u32_e32 v12, vcc, 0, v12, vcc
	v_cmp_gt_i32_e32 vcc, 31, v13
	v_lshrrev_b32_e32 v6, 16, v1
	s_nop 0
	v_cndmask_b32_e32 v12, v8, v12, vcc
	v_cmp_ne_u32_e32 vcc, 0, v4
	s_nop 1
	v_cndmask_b32_e64 v4, 0, 1, vcc
	v_lshl_or_b32 v4, v4, 9, v8
	v_cmp_eq_u32_e32 vcc, s14, v13
	s_nop 1
	v_cndmask_b32_e32 v4, v12, v4, vcc
	v_and_or_b32 v4, v5, s15, v4
	v_mul_f16_sdwa v5, v126, v6 dst_sel:DWORD dst_unused:UNUSED_PAD src0_sel:WORD_1 src1_sel:DWORD
	v_fma_f16 v5, v126, v1, v5
	v_cvt_f32_f16_e32 v5, v5
	v_lshl_or_b32 v0, v4, 16, v0
	global_store_dword v[2:3], v0, off
	v_mul_f16_sdwa v1, v126, v1 dst_sel:DWORD dst_unused:UNUSED_PAD src0_sel:WORD_1 src1_sel:DWORD
	v_cvt_f64_f32_e32 v[4:5], v5
	v_mul_f64 v[4:5], v[4:5], s[10:11]
	v_and_or_b32 v0, v5, s17, v4
	v_cmp_ne_u32_e32 vcc, 0, v0
	v_lshrrev_b32_e32 v4, 8, v5
	v_bfe_u32 v12, v5, 20, 11
	v_cndmask_b32_e64 v0, 0, 1, vcc
	v_and_or_b32 v0, v4, s16, v0
	v_sub_u32_e32 v13, 0x3f1, v12
	v_or_b32_e32 v4, 0x1000, v0
	v_med3_i32 v13, v13, 0, 13
	v_lshrrev_b32_e32 v14, v13, v4
	v_lshlrev_b32_e32 v13, v13, v14
	v_cmp_ne_u32_e32 vcc, v13, v4
	v_add_u32_e32 v12, 0xfffffc10, v12
	v_lshl_or_b32 v13, v12, 12, v0
	v_cndmask_b32_e64 v4, 0, 1, vcc
	v_or_b32_e32 v4, v14, v4
	v_cmp_gt_i32_e32 vcc, 1, v12
	v_fma_f16 v1, v126, v6, -v1
	v_cvt_f32_f16_e32 v1, v1
	v_cndmask_b32_e32 v4, v13, v4, vcc
	v_and_b32_e32 v13, 7, v4
	v_cmp_lt_i32_e32 vcc, 5, v13
	v_cmp_eq_u32_e64 s[0:1], 3, v13
	v_lshrrev_b32_e32 v4, 2, v4
	s_or_b64 vcc, s[0:1], vcc
	v_addc_co_u32_e32 v4, vcc, 0, v4, vcc
	v_cmp_gt_i32_e32 vcc, 31, v12
	v_and_b32_sdwa v5, v5, s15 dst_sel:DWORD dst_unused:UNUSED_PAD src0_sel:WORD_1 src1_sel:DWORD
	v_lshl_add_u64 v[2:3], v[2:3], 0, s[12:13]
	v_cndmask_b32_e32 v4, v8, v4, vcc
	v_cmp_ne_u32_e32 vcc, 0, v0
	s_nop 1
	v_cndmask_b32_e64 v0, 0, 1, vcc
	v_lshl_or_b32 v0, v0, 9, v8
	v_cmp_eq_u32_e32 vcc, s14, v12
	s_nop 1
	v_cndmask_b32_e32 v4, v4, v0, vcc
	v_cvt_f64_f32_e32 v[0:1], v1
	v_mul_f64 v[0:1], v[0:1], s[10:11]
	v_and_or_b32 v0, v1, s17, v0
	v_cmp_ne_u32_e32 vcc, 0, v0
	v_lshrrev_b32_e32 v6, 8, v1
	v_bfe_u32 v12, v1, 20, 11
	v_cndmask_b32_e64 v0, 0, 1, vcc
	v_and_or_b32 v0, v6, s16, v0
	v_sub_u32_e32 v13, 0x3f1, v12
	v_or_b32_e32 v6, 0x1000, v0
	v_med3_i32 v13, v13, 0, 13
	v_lshrrev_b32_e32 v14, v13, v6
	v_lshlrev_b32_e32 v13, v13, v14
	v_cmp_ne_u32_e32 vcc, v13, v6
	v_add_u32_e32 v12, 0xfffffc10, v12
	v_lshl_or_b32 v13, v12, 12, v0
	v_cndmask_b32_e64 v6, 0, 1, vcc
	v_or_b32_e32 v6, v14, v6
	v_cmp_gt_i32_e32 vcc, 1, v12
	v_lshrrev_b32_e32 v1, 16, v1
	s_nop 0
	v_cndmask_b32_e32 v6, v13, v6, vcc
	v_and_b32_e32 v13, 7, v6
	v_cmp_lt_i32_e32 vcc, 5, v13
	v_cmp_eq_u32_e64 s[0:1], 3, v13
	v_lshrrev_b32_e32 v6, 2, v6
	s_or_b64 vcc, s[0:1], vcc
	v_addc_co_u32_e32 v6, vcc, 0, v6, vcc
	v_cmp_gt_i32_e32 vcc, 31, v12
	s_nop 1
	v_cndmask_b32_e32 v6, v8, v6, vcc
	v_cmp_ne_u32_e32 vcc, 0, v0
	s_nop 1
	v_cndmask_b32_e64 v0, 0, 1, vcc
	v_lshl_or_b32 v0, v0, 9, v8
	v_cmp_eq_u32_e32 vcc, s14, v12
	s_nop 1
	v_cndmask_b32_e32 v0, v6, v0, vcc
	v_and_or_b32 v0, v1, s15, v0
	v_bitop3_b32 v1, v5, s18, v4 bitop3:0xc8
	v_lshrrev_b32_e32 v4, 16, v7
	v_mul_f16_sdwa v5, v128, v4 dst_sel:DWORD dst_unused:UNUSED_PAD src0_sel:WORD_1 src1_sel:DWORD
	v_fma_f16 v5, v128, v7, v5
	v_cvt_f32_f16_e32 v5, v5
	v_lshl_or_b32 v0, v0, 16, v1
	global_store_dword v[2:3], v0, off
	v_mul_f16_sdwa v7, v128, v7 dst_sel:DWORD dst_unused:UNUSED_PAD src0_sel:WORD_1 src1_sel:DWORD
	v_cvt_f64_f32_e32 v[0:1], v5
	v_mul_f64 v[0:1], v[0:1], s[10:11]
	v_and_or_b32 v0, v1, s17, v0
	v_cmp_ne_u32_e32 vcc, 0, v0
	v_lshrrev_b32_e32 v5, 8, v1
	v_bfe_u32 v6, v1, 20, 11
	v_cndmask_b32_e64 v0, 0, 1, vcc
	v_and_or_b32 v0, v5, s16, v0
	v_sub_u32_e32 v12, 0x3f1, v6
	v_or_b32_e32 v5, 0x1000, v0
	v_med3_i32 v12, v12, 0, 13
	v_lshrrev_b32_e32 v13, v12, v5
	v_lshlrev_b32_e32 v12, v12, v13
	v_cmp_ne_u32_e32 vcc, v12, v5
	v_add_u32_e32 v6, 0xfffffc10, v6
	v_lshl_or_b32 v12, v6, 12, v0
	v_cndmask_b32_e64 v5, 0, 1, vcc
	v_or_b32_e32 v5, v13, v5
	v_cmp_gt_i32_e32 vcc, 1, v6
	v_fma_f16 v4, v128, v4, -v7
	v_cvt_f32_f16_e32 v4, v4
	v_cndmask_b32_e32 v5, v12, v5, vcc
	v_and_b32_e32 v12, 7, v5
	v_cmp_lt_i32_e32 vcc, 5, v12
	v_cmp_eq_u32_e64 s[0:1], 3, v12
	v_lshrrev_b32_e32 v5, 2, v5
	s_or_b64 vcc, s[0:1], vcc
	v_addc_co_u32_e32 v5, vcc, 0, v5, vcc
	v_cmp_gt_i32_e32 vcc, 31, v6
	v_and_b32_sdwa v7, v1, s15 dst_sel:DWORD dst_unused:UNUSED_PAD src0_sel:WORD_1 src1_sel:DWORD
	s_nop 0
	v_cndmask_b32_e32 v5, v8, v5, vcc
	v_cmp_ne_u32_e32 vcc, 0, v0
	s_nop 1
	v_cndmask_b32_e64 v0, 0, 1, vcc
	v_lshl_or_b32 v0, v0, 9, v8
	v_cmp_eq_u32_e32 vcc, s14, v6
	s_nop 1
	v_cndmask_b32_e32 v6, v5, v0, vcc
	v_cvt_f64_f32_e32 v[0:1], v4
	v_mul_f64 v[4:5], v[0:1], s[10:11]
	v_and_or_b32 v0, v5, s17, v4
	v_cmp_ne_u32_e32 vcc, 0, v0
	v_lshrrev_b32_e32 v1, 8, v5
	v_bfe_u32 v4, v5, 20, 11
	v_cndmask_b32_e64 v0, 0, 1, vcc
	v_and_or_b32 v0, v1, s16, v0
	v_sub_u32_e32 v12, 0x3f1, v4
	v_or_b32_e32 v1, 0x1000, v0
	v_med3_i32 v12, v12, 0, 13
	v_lshrrev_b32_e32 v13, v12, v1
	v_lshlrev_b32_e32 v12, v12, v13
	v_cmp_ne_u32_e32 vcc, v12, v1
	v_add_u32_e32 v4, 0xfffffc10, v4
	v_lshl_or_b32 v12, v4, 12, v0
	v_cndmask_b32_e64 v1, 0, 1, vcc
	v_or_b32_e32 v1, v13, v1
	v_cmp_gt_i32_e32 vcc, 1, v4
	v_lshrrev_b32_e32 v5, 16, v5
	s_nop 0
	v_cndmask_b32_e32 v1, v12, v1, vcc
	v_and_b32_e32 v12, 7, v1
	v_cmp_lt_i32_e32 vcc, 5, v12
	v_cmp_eq_u32_e64 s[0:1], 3, v12
	v_lshrrev_b32_e32 v1, 2, v1
	s_or_b64 vcc, s[0:1], vcc
	v_addc_co_u32_e32 v1, vcc, 0, v1, vcc
	v_cmp_gt_i32_e32 vcc, 31, v4
	s_nop 1
	v_cndmask_b32_e32 v12, v8, v1, vcc
	v_cmp_ne_u32_e32 vcc, 0, v0
	s_nop 1
	v_cndmask_b32_e64 v0, 0, 1, vcc
	v_lshl_or_b32 v13, v0, 9, v8
	ds_read2st64_b32 v[0:1], v82 offset0:14 offset1:21
	v_cmp_eq_u32_e32 vcc, s14, v4
	s_nop 1
	v_cndmask_b32_e32 v4, v12, v13, vcc
	v_and_or_b32 v4, v5, s15, v4
	v_bitop3_b32 v5, v7, s18, v6 bitop3:0xc8
	s_waitcnt lgkmcnt(0)
	v_lshrrev_b32_e32 v6, 16, v0
	v_mul_f16_sdwa v7, v123, v6 dst_sel:DWORD dst_unused:UNUSED_PAD src0_sel:WORD_1 src1_sel:DWORD
	v_fma_f16 v7, v123, v0, v7
	v_cvt_f32_f16_e32 v7, v7
	v_lshl_or_b32 v12, v4, 16, v5
	v_lshl_add_u64 v[4:5], v[2:3], 0, s[12:13]
	global_store_dword v[4:5], v12, off
	v_cvt_f64_f32_e32 v[2:3], v7
	v_mul_f64 v[2:3], v[2:3], s[10:11]
	v_and_or_b32 v2, v3, s17, v2
	v_cmp_ne_u32_e32 vcc, 0, v2
	v_lshrrev_b32_e32 v7, 8, v3
	v_bfe_u32 v12, v3, 20, 11
	v_cndmask_b32_e64 v2, 0, 1, vcc
	v_and_or_b32 v2, v7, s16, v2
	v_sub_u32_e32 v13, 0x3f1, v12
	v_or_b32_e32 v7, 0x1000, v2
	v_med3_i32 v13, v13, 0, 13
	v_lshrrev_b32_e32 v14, v13, v7
	v_lshlrev_b32_e32 v13, v13, v14
	v_cmp_ne_u32_e32 vcc, v13, v7
	v_add_u32_e32 v12, 0xfffffc10, v12
	v_lshl_or_b32 v13, v12, 12, v2
	v_cndmask_b32_e64 v7, 0, 1, vcc
	v_or_b32_e32 v7, v14, v7
	v_cmp_gt_i32_e32 vcc, 1, v12
	v_mul_f16_sdwa v0, v123, v0 dst_sel:DWORD dst_unused:UNUSED_PAD src0_sel:WORD_1 src1_sel:DWORD
	v_fma_f16 v0, v123, v6, -v0
	v_cndmask_b32_e32 v7, v13, v7, vcc
	v_and_b32_e32 v13, 7, v7
	v_cmp_lt_i32_e32 vcc, 5, v13
	v_cmp_eq_u32_e64 s[0:1], 3, v13
	v_lshrrev_b32_e32 v7, 2, v7
	s_or_b64 vcc, s[0:1], vcc
	v_addc_co_u32_e32 v7, vcc, 0, v7, vcc
	v_cmp_gt_i32_e32 vcc, 31, v12
	v_cvt_f32_f16_e32 v0, v0
	v_and_b32_sdwa v13, v3, s15 dst_sel:DWORD dst_unused:UNUSED_PAD src0_sel:WORD_1 src1_sel:DWORD
	v_cndmask_b32_e32 v7, v8, v7, vcc
	v_cmp_ne_u32_e32 vcc, 0, v2
	s_nop 1
	v_cndmask_b32_e64 v2, 0, 1, vcc
	v_lshl_or_b32 v2, v2, 9, v8
	v_cmp_eq_u32_e32 vcc, s14, v12
	s_nop 1
	v_cndmask_b32_e32 v12, v7, v2, vcc
	v_cvt_f64_f32_e32 v[2:3], v0
	v_mul_f64 v[6:7], v[2:3], s[10:11]
	v_and_or_b32 v0, v7, s17, v6
	v_cmp_ne_u32_e32 vcc, 0, v0
	v_lshrrev_b32_e32 v2, 8, v7
	v_bfe_u32 v3, v7, 20, 11
	v_cndmask_b32_e64 v0, 0, 1, vcc
	v_and_or_b32 v0, v2, s16, v0
	v_sub_u32_e32 v6, 0x3f1, v3
	v_or_b32_e32 v2, 0x1000, v0
	v_med3_i32 v6, v6, 0, 13
	v_lshrrev_b32_e32 v14, v6, v2
	v_lshlrev_b32_e32 v6, v6, v14
	v_cmp_ne_u32_e32 vcc, v6, v2
	v_add_u32_e32 v6, 0xfffffc10, v3
	v_lshl_or_b32 v3, v6, 12, v0
	v_cndmask_b32_e64 v2, 0, 1, vcc
	v_or_b32_e32 v2, v14, v2
	v_cmp_gt_i32_e32 vcc, 1, v6
	s_nop 1
	v_cndmask_b32_e32 v2, v3, v2, vcc
	v_and_b32_e32 v3, 7, v2
	v_cmp_lt_i32_e32 vcc, 5, v3
	v_cmp_eq_u32_e64 s[0:1], 3, v3
	v_lshrrev_b32_e32 v2, 2, v2
	s_or_b64 vcc, s[0:1], vcc
	v_addc_co_u32_e32 v2, vcc, 0, v2, vcc
	v_cmp_gt_i32_e32 vcc, 31, v6
	s_nop 1
	v_cndmask_b32_e32 v14, v8, v2, vcc
	ds_read2st64_b32 v[2:3], v9 offset0:57 offset1:64
	v_cmp_ne_u32_e32 vcc, 0, v0
	s_nop 1
	v_cndmask_b32_e64 v0, 0, 1, vcc
	v_lshl_or_b32 v0, v0, 9, v8
	v_cmp_eq_u32_e32 vcc, s14, v6
	v_lshrrev_b32_e32 v6, 16, v7
	s_nop 0
	v_cndmask_b32_e32 v0, v14, v0, vcc
	v_and_or_b32 v0, v6, s15, v0
	v_bitop3_b32 v6, v13, s18, v12 bitop3:0xc8
	s_waitcnt lgkmcnt(0)
	v_lshrrev_b32_e32 v12, 16, v2
	v_mul_f16_sdwa v7, v125, v12 dst_sel:DWORD dst_unused:UNUSED_PAD src0_sel:WORD_1 src1_sel:DWORD
	v_fma_f16 v7, v125, v2, v7
	v_cvt_f32_f16_e32 v13, v7
	v_lshl_or_b32 v0, v0, 16, v6
	v_lshl_add_u64 v[6:7], v[4:5], 0, s[4:5]
	global_store_dword v[6:7], v0, off
	v_cvt_f64_f32_e32 v[4:5], v13
	v_mul_f64 v[4:5], v[4:5], s[10:11]
	v_and_or_b32 v0, v5, s17, v4
	v_cmp_ne_u32_e32 vcc, 0, v0
	v_lshrrev_b32_e32 v4, 8, v5
	v_bfe_u32 v13, v5, 20, 11
	v_cndmask_b32_e64 v0, 0, 1, vcc
	v_and_or_b32 v0, v4, s16, v0
	v_sub_u32_e32 v14, 0x3f1, v13
	v_or_b32_e32 v4, 0x1000, v0
	v_med3_i32 v14, v14, 0, 13
	v_lshrrev_b32_e32 v15, v14, v4
	v_lshlrev_b32_e32 v14, v14, v15
	v_cmp_ne_u32_e32 vcc, v14, v4
	v_add_u32_e32 v13, 0xfffffc10, v13
	v_lshl_or_b32 v14, v13, 12, v0
	v_cndmask_b32_e64 v4, 0, 1, vcc
	v_or_b32_e32 v4, v15, v4
	v_cmp_gt_i32_e32 vcc, 1, v13
	v_mul_f16_sdwa v2, v125, v2 dst_sel:DWORD dst_unused:UNUSED_PAD src0_sel:WORD_1 src1_sel:DWORD
	v_fma_f16 v2, v125, v12, -v2
	v_cndmask_b32_e32 v4, v14, v4, vcc
	v_and_b32_e32 v14, 7, v4
	v_cmp_lt_i32_e32 vcc, 5, v14
	v_cmp_eq_u32_e64 s[0:1], 3, v14
	v_lshrrev_b32_e32 v4, 2, v4
	s_or_b64 vcc, s[0:1], vcc
	v_addc_co_u32_e32 v4, vcc, 0, v4, vcc
	v_cmp_gt_i32_e32 vcc, 31, v13
	v_cvt_f32_f16_e32 v2, v2
	v_and_b32_sdwa v14, v5, s15 dst_sel:DWORD dst_unused:UNUSED_PAD src0_sel:WORD_1 src1_sel:DWORD
	v_cndmask_b32_e32 v4, v8, v4, vcc
	v_cmp_ne_u32_e32 vcc, 0, v0
	s_nop 1
	v_cndmask_b32_e64 v0, 0, 1, vcc
	v_lshl_or_b32 v0, v0, 9, v8
	v_cmp_eq_u32_e32 vcc, s14, v13
	s_nop 1
	v_cndmask_b32_e32 v0, v4, v0, vcc
	v_cvt_f64_f32_e32 v[4:5], v2
	v_mul_f64 v[12:13], v[4:5], s[10:11]
	v_and_or_b32 v2, v13, s17, v12
	v_cmp_ne_u32_e32 vcc, 0, v2
	v_lshrrev_b32_e32 v4, 8, v13
	v_bfe_u32 v5, v13, 20, 11
	v_cndmask_b32_e64 v2, 0, 1, vcc
	v_and_or_b32 v2, v4, s16, v2
	v_sub_u32_e32 v12, 0x3f1, v5
	v_or_b32_e32 v4, 0x1000, v2
	v_med3_i32 v12, v12, 0, 13
	v_lshrrev_b32_e32 v15, v12, v4
	v_lshlrev_b32_e32 v12, v12, v15
	v_cmp_ne_u32_e32 vcc, v12, v4
	v_add_u32_e32 v12, 0xfffffc10, v5
	v_lshl_or_b32 v5, v12, 12, v2
	v_cndmask_b32_e64 v4, 0, 1, vcc
	v_or_b32_e32 v4, v15, v4
	v_cmp_gt_i32_e32 vcc, 1, v12
	v_bitop3_b32 v0, v14, s18, v0 bitop3:0xc8
	s_nop 0
	v_cndmask_b32_e32 v4, v5, v4, vcc
	v_and_b32_e32 v5, 7, v4
	v_cmp_lt_i32_e32 vcc, 5, v5
	v_cmp_eq_u32_e64 s[0:1], 3, v5
	v_lshrrev_b32_e32 v4, 2, v4
	s_or_b64 vcc, s[0:1], vcc
	v_addc_co_u32_e32 v4, vcc, 0, v4, vcc
	v_cmp_gt_i32_e32 vcc, 31, v12
	s_nop 1
	v_cndmask_b32_e32 v15, v8, v4, vcc
	ds_read2st64_b32 v[4:5], v10 offset0:101 offset1:108
	v_cmp_ne_u32_e32 vcc, 0, v2
	s_waitcnt lgkmcnt(0)
	v_lshrrev_b32_e32 v14, 16, v4
	v_cndmask_b32_e64 v2, 0, 1, vcc
	v_lshl_or_b32 v2, v2, 9, v8
	v_cmp_eq_u32_e32 vcc, s14, v12
	v_lshrrev_b32_e32 v12, 16, v13
	s_nop 0
	v_cndmask_b32_e32 v2, v15, v2, vcc
	v_and_or_b32 v2, v12, s15, v2
	v_mul_f16_sdwa v12, v124, v14 dst_sel:DWORD dst_unused:UNUSED_PAD src0_sel:WORD_1 src1_sel:DWORD
	v_fma_f16 v12, v124, v4, v12
	v_cvt_f32_f16_e32 v15, v12
	v_lshl_add_u64 v[12:13], v[6:7], 0, s[12:13]
	v_lshl_or_b32 v0, v2, 16, v0
	global_store_dword v[12:13], v0, off
	v_cvt_f64_f32_e32 v[6:7], v15
	v_mul_f64 v[6:7], v[6:7], s[10:11]
	v_and_or_b32 v0, v7, s17, v6
	v_cmp_ne_u32_e32 vcc, 0, v0
	v_lshrrev_b32_e32 v2, 8, v7
	v_bfe_u32 v6, v7, 20, 11
	v_cndmask_b32_e64 v0, 0, 1, vcc
	v_and_or_b32 v0, v2, s16, v0
	v_sub_u32_e32 v15, 0x3f1, v6
	v_or_b32_e32 v2, 0x1000, v0
	v_med3_i32 v15, v15, 0, 13
	v_lshrrev_b32_e32 v16, v15, v2
	v_lshlrev_b32_e32 v15, v15, v16
	v_cmp_ne_u32_e32 vcc, v15, v2
	v_add_u32_e32 v6, 0xfffffc10, v6
	v_lshl_or_b32 v15, v6, 12, v0
	v_cndmask_b32_e64 v2, 0, 1, vcc
	v_or_b32_e32 v2, v16, v2
	v_cmp_gt_i32_e32 vcc, 1, v6
	v_mul_f16_sdwa v4, v124, v4 dst_sel:DWORD dst_unused:UNUSED_PAD src0_sel:WORD_1 src1_sel:DWORD
	v_fma_f16 v4, v124, v14, -v4
	v_cndmask_b32_e32 v2, v15, v2, vcc
	v_and_b32_e32 v15, 7, v2
	v_cmp_lt_i32_e32 vcc, 5, v15
	v_cmp_eq_u32_e64 s[0:1], 3, v15
	v_lshrrev_b32_e32 v2, 2, v2
	s_or_b64 vcc, s[0:1], vcc
	v_addc_co_u32_e32 v2, vcc, 0, v2, vcc
	v_cmp_gt_i32_e32 vcc, 31, v6
	v_cvt_f32_f16_e32 v4, v4
	v_lshl_add_u64 v[12:13], v[12:13], 0, s[12:13]
	v_cndmask_b32_e32 v2, v8, v2, vcc
	v_cmp_ne_u32_e32 vcc, 0, v0
	s_nop 1
	v_cndmask_b32_e64 v0, 0, 1, vcc
	v_lshl_or_b32 v0, v0, 9, v8
	v_cmp_eq_u32_e32 vcc, s14, v6
	s_nop 1
	v_cndmask_b32_e32 v0, v2, v0, vcc
	v_and_b32_sdwa v2, v7, s15 dst_sel:DWORD dst_unused:UNUSED_PAD src0_sel:WORD_1 src1_sel:DWORD
	v_cvt_f64_f32_e32 v[6:7], v4
	v_mul_f64 v[14:15], v[6:7], s[10:11]
	v_and_or_b32 v4, v15, s17, v14
	v_cmp_ne_u32_e32 vcc, 0, v4
	v_lshrrev_b32_e32 v6, 8, v15
	v_bfe_u32 v7, v15, 20, 11
	v_cndmask_b32_e64 v4, 0, 1, vcc
	v_and_or_b32 v4, v6, s16, v4
	v_sub_u32_e32 v14, 0x3f1, v7
	v_or_b32_e32 v6, 0x1000, v4
	v_med3_i32 v14, v14, 0, 13
	v_lshrrev_b32_e32 v16, v14, v6
	v_lshlrev_b32_e32 v14, v14, v16
	v_cmp_ne_u32_e32 vcc, v14, v6
	v_add_u32_e32 v14, 0xfffffc10, v7
	v_lshl_or_b32 v7, v14, 12, v4
	v_cndmask_b32_e64 v6, 0, 1, vcc
	v_or_b32_e32 v6, v16, v6
	v_cmp_gt_i32_e32 vcc, 1, v14
	v_bitop3_b32 v0, v2, s18, v0 bitop3:0xc8
	s_nop 0
	v_cndmask_b32_e32 v6, v7, v6, vcc
	v_and_b32_e32 v7, 7, v6
	v_cmp_lt_i32_e32 vcc, 5, v7
	v_cmp_eq_u32_e64 s[0:1], 3, v7
	v_lshrrev_b32_e32 v6, 2, v6
	s_or_b64 vcc, s[0:1], vcc
	v_addc_co_u32_e32 v6, vcc, 0, v6, vcc
	v_cmp_gt_i32_e32 vcc, 31, v14
	s_nop 1
	v_cndmask_b32_e32 v16, v8, v6, vcc
	ds_read2st64_b32 v[6:7], v11 offset0:145 offset1:152
	v_cmp_ne_u32_e32 vcc, 0, v4
	s_waitcnt lgkmcnt(0)
	v_lshrrev_b32_e32 v2, 16, v6
	v_cndmask_b32_e64 v4, 0, 1, vcc
	v_lshl_or_b32 v4, v4, 9, v8
	v_cmp_eq_u32_e32 vcc, s14, v14
	v_lshrrev_b32_e32 v14, 16, v15
	s_nop 0
	v_cndmask_b32_e32 v4, v16, v4, vcc
	v_and_or_b32 v4, v14, s15, v4
	v_mul_f16_sdwa v14, v122, v2 dst_sel:DWORD dst_unused:UNUSED_PAD src0_sel:WORD_1 src1_sel:DWORD
	v_fma_f16 v14, v122, v6, v14
	v_cvt_f32_f16_e32 v14, v14
	v_lshl_or_b32 v0, v4, 16, v0
	global_store_dword v[12:13], v0, off
	v_mul_f16_sdwa v6, v122, v6 dst_sel:DWORD dst_unused:UNUSED_PAD src0_sel:WORD_1 src1_sel:DWORD
	v_cvt_f64_f32_e32 v[14:15], v14
	v_mul_f64 v[14:15], v[14:15], s[10:11]
	v_and_or_b32 v0, v15, s17, v14
	v_cmp_ne_u32_e32 vcc, 0, v0
	v_lshrrev_b32_e32 v4, 8, v15
	v_bfe_u32 v14, v15, 20, 11
	v_cndmask_b32_e64 v0, 0, 1, vcc
	v_and_or_b32 v0, v4, s16, v0
	v_sub_u32_e32 v16, 0x3f1, v14
	v_or_b32_e32 v4, 0x1000, v0
	v_med3_i32 v16, v16, 0, 13
	v_lshrrev_b32_e32 v17, v16, v4
	v_lshlrev_b32_e32 v16, v16, v17
	v_cmp_ne_u32_e32 vcc, v16, v4
	v_add_u32_e32 v14, 0xfffffc10, v14
	v_lshl_or_b32 v16, v14, 12, v0
	v_cndmask_b32_e64 v4, 0, 1, vcc
	v_or_b32_e32 v4, v17, v4
	v_cmp_gt_i32_e32 vcc, 1, v14
	v_fma_f16 v2, v122, v2, -v6
	v_cvt_f32_f16_e32 v2, v2
	v_cndmask_b32_e32 v4, v16, v4, vcc
	v_and_b32_e32 v16, 7, v4
	v_cmp_lt_i32_e32 vcc, 5, v16
	v_cmp_eq_u32_e64 s[0:1], 3, v16
	v_lshrrev_b32_e32 v4, 2, v4
	s_or_b64 vcc, s[0:1], vcc
	v_addc_co_u32_e32 v4, vcc, 0, v4, vcc
	v_cmp_gt_i32_e32 vcc, 31, v14
	v_lshl_add_u64 v[12:13], v[12:13], 0, s[12:13]
	s_nop 0
	v_cndmask_b32_e32 v4, v8, v4, vcc
	v_cmp_ne_u32_e32 vcc, 0, v0
	s_nop 1
	v_cndmask_b32_e64 v0, 0, 1, vcc
	v_lshl_or_b32 v0, v0, 9, v8
	v_cmp_eq_u32_e32 vcc, s14, v14
	s_nop 1
	v_cndmask_b32_e32 v0, v4, v0, vcc
	v_and_b32_sdwa v4, v15, s15 dst_sel:DWORD dst_unused:UNUSED_PAD src0_sel:WORD_1 src1_sel:DWORD
	v_cvt_f64_f32_e32 v[14:15], v2
	v_mul_f64 v[14:15], v[14:15], s[10:11]
	v_and_or_b32 v2, v15, s17, v14
	v_cmp_ne_u32_e32 vcc, 0, v2
	v_lshrrev_b32_e32 v6, 8, v15
	v_bfe_u32 v14, v15, 20, 11
	v_cndmask_b32_e64 v2, 0, 1, vcc
	v_and_or_b32 v2, v6, s16, v2
	v_sub_u32_e32 v16, 0x3f1, v14
	v_or_b32_e32 v6, 0x1000, v2
	v_med3_i32 v16, v16, 0, 13
	v_lshrrev_b32_e32 v17, v16, v6
	v_lshlrev_b32_e32 v16, v16, v17
	v_cmp_ne_u32_e32 vcc, v16, v6
	v_add_u32_e32 v14, 0xfffffc10, v14
	v_lshl_or_b32 v16, v14, 12, v2
	v_cndmask_b32_e64 v6, 0, 1, vcc
	v_or_b32_e32 v6, v17, v6
	v_cmp_gt_i32_e32 vcc, 1, v14
	v_bitop3_b32 v0, v4, s18, v0 bitop3:0xc8
	v_lshrrev_b32_e32 v4, 16, v1
	v_cndmask_b32_e32 v6, v16, v6, vcc
	v_and_b32_e32 v16, 7, v6
	v_cmp_lt_i32_e32 vcc, 5, v16
	v_cmp_eq_u32_e64 s[0:1], 3, v16
	v_lshrrev_b32_e32 v6, 2, v6
	s_or_b64 vcc, s[0:1], vcc
	v_addc_co_u32_e32 v6, vcc, 0, v6, vcc
	v_cmp_gt_i32_e32 vcc, 31, v14
	s_nop 1
	v_cndmask_b32_e32 v6, v8, v6, vcc
	v_cmp_ne_u32_e32 vcc, 0, v2
	s_nop 1
	v_cndmask_b32_e64 v2, 0, 1, vcc
	v_lshl_or_b32 v2, v2, 9, v8
	v_cmp_eq_u32_e32 vcc, s14, v14
	s_nop 1
	v_cndmask_b32_e32 v2, v6, v2, vcc
	v_lshrrev_b32_e32 v6, 16, v15
	v_and_or_b32 v2, v6, s15, v2
	v_mul_f16_sdwa v6, v121, v4 dst_sel:DWORD dst_unused:UNUSED_PAD src0_sel:WORD_1 src1_sel:DWORD
	v_fma_f16 v6, v121, v1, v6
	v_cvt_f32_f16_e32 v6, v6
	v_lshl_or_b32 v0, v2, 16, v0
	global_store_dword v[12:13], v0, off
	v_mul_f16_sdwa v1, v121, v1 dst_sel:DWORD dst_unused:UNUSED_PAD src0_sel:WORD_1 src1_sel:DWORD
	v_cvt_f64_f32_e32 v[14:15], v6
	v_mul_f64 v[14:15], v[14:15], s[10:11]
	v_and_or_b32 v0, v15, s17, v14
	v_cmp_ne_u32_e32 vcc, 0, v0
	v_lshrrev_b32_e32 v2, 8, v15
	v_bfe_u32 v6, v15, 20, 11
	v_cndmask_b32_e64 v0, 0, 1, vcc
	v_and_or_b32 v0, v2, s16, v0
	v_sub_u32_e32 v14, 0x3f1, v6
	v_or_b32_e32 v2, 0x1000, v0
	v_med3_i32 v14, v14, 0, 13
	v_lshrrev_b32_e32 v16, v14, v2
	v_lshlrev_b32_e32 v14, v14, v16
	v_cmp_ne_u32_e32 vcc, v14, v2
	v_add_u32_e32 v6, 0xfffffc10, v6
	v_lshl_or_b32 v14, v6, 12, v0
	v_cndmask_b32_e64 v2, 0, 1, vcc
	v_or_b32_e32 v2, v16, v2
	v_cmp_gt_i32_e32 vcc, 1, v6
	v_fma_f16 v1, v121, v4, -v1
	v_cvt_f32_f16_e32 v1, v1
	v_cndmask_b32_e32 v2, v14, v2, vcc
	v_and_b32_e32 v14, 7, v2
	v_cmp_lt_i32_e32 vcc, 5, v14
	v_cmp_eq_u32_e64 s[0:1], 3, v14
	v_lshrrev_b32_e32 v2, 2, v2
	s_or_b64 vcc, s[0:1], vcc
	v_addc_co_u32_e32 v2, vcc, 0, v2, vcc
	v_cmp_gt_i32_e32 vcc, 31, v6
	v_and_b32_sdwa v4, v15, s15 dst_sel:DWORD dst_unused:UNUSED_PAD src0_sel:WORD_1 src1_sel:DWORD
	s_nop 0
	v_cndmask_b32_e32 v2, v8, v2, vcc
	v_cmp_ne_u32_e32 vcc, 0, v0
	s_nop 1
	v_cndmask_b32_e64 v0, 0, 1, vcc
	v_lshl_or_b32 v0, v0, 9, v8
	v_cmp_eq_u32_e32 vcc, s14, v6
	s_nop 1
	v_cndmask_b32_e32 v2, v2, v0, vcc
	v_cvt_f64_f32_e32 v[0:1], v1
	v_mul_f64 v[0:1], v[0:1], s[10:11]
	v_and_or_b32 v0, v1, s17, v0
	v_cmp_ne_u32_e32 vcc, 0, v0
	v_lshrrev_b32_e32 v6, 8, v1
	v_bfe_u32 v14, v1, 20, 11
	v_cndmask_b32_e64 v0, 0, 1, vcc
	v_and_or_b32 v0, v6, s16, v0
	v_sub_u32_e32 v15, 0x3f1, v14
	v_or_b32_e32 v6, 0x1000, v0
	v_med3_i32 v15, v15, 0, 13
	v_lshrrev_b32_e32 v16, v15, v6
	v_lshlrev_b32_e32 v15, v15, v16
	v_cmp_ne_u32_e32 vcc, v15, v6
	v_add_u32_e32 v14, 0xfffffc10, v14
	v_lshl_or_b32 v15, v14, 12, v0
	v_cndmask_b32_e64 v6, 0, 1, vcc
	v_or_b32_e32 v6, v16, v6
	v_cmp_gt_i32_e32 vcc, 1, v14
	v_lshrrev_b32_e32 v1, 16, v1
	s_nop 0
	v_cndmask_b32_e32 v6, v15, v6, vcc
	v_and_b32_e32 v15, 7, v6
	v_cmp_lt_i32_e32 vcc, 5, v15
	v_cmp_eq_u32_e64 s[0:1], 3, v15
	v_lshrrev_b32_e32 v6, 2, v6
	s_or_b64 vcc, s[0:1], vcc
	v_addc_co_u32_e32 v6, vcc, 0, v6, vcc
	v_cmp_gt_i32_e32 vcc, 31, v14
	s_nop 1
	v_cndmask_b32_e32 v6, v8, v6, vcc
	v_cmp_ne_u32_e32 vcc, 0, v0
	s_nop 1
	v_cndmask_b32_e64 v0, 0, 1, vcc
	v_lshl_or_b32 v0, v0, 9, v8
	v_cmp_eq_u32_e32 vcc, s14, v14
	s_nop 1
	v_cndmask_b32_e32 v0, v6, v0, vcc
	v_and_or_b32 v0, v1, s15, v0
	v_bitop3_b32 v1, v4, s18, v2 bitop3:0xc8
	v_lshrrev_b32_e32 v2, 16, v3
	v_mul_f16_sdwa v4, v120, v2 dst_sel:DWORD dst_unused:UNUSED_PAD src0_sel:WORD_1 src1_sel:DWORD
	v_fma_f16 v4, v120, v3, v4
	v_cvt_f32_f16_e32 v4, v4
	v_lshl_or_b32 v6, v0, 16, v1
	v_lshl_add_u64 v[0:1], v[12:13], 0, s[4:5]
	global_store_dword v[0:1], v6, off
	v_cvt_f64_f32_e32 v[12:13], v4
	v_mul_f64 v[12:13], v[12:13], s[10:11]
	v_and_or_b32 v4, v13, s17, v12
	v_cmp_ne_u32_e32 vcc, 0, v4
	v_lshrrev_b32_e32 v6, 8, v13
	v_bfe_u32 v12, v13, 20, 11
	v_cndmask_b32_e64 v4, 0, 1, vcc
	v_and_or_b32 v4, v6, s16, v4
	v_sub_u32_e32 v14, 0x3f1, v12
	v_or_b32_e32 v6, 0x1000, v4
	v_med3_i32 v14, v14, 0, 13
	v_lshrrev_b32_e32 v15, v14, v6
	v_lshlrev_b32_e32 v14, v14, v15
	v_cmp_ne_u32_e32 vcc, v14, v6
	v_add_u32_e32 v12, 0xfffffc10, v12
	v_lshl_or_b32 v14, v12, 12, v4
	v_cndmask_b32_e64 v6, 0, 1, vcc
	v_or_b32_e32 v6, v15, v6
	v_cmp_gt_i32_e32 vcc, 1, v12
	v_mul_f16_sdwa v3, v120, v3 dst_sel:DWORD dst_unused:UNUSED_PAD src0_sel:WORD_1 src1_sel:DWORD
	v_fma_f16 v2, v120, v2, -v3
	v_cndmask_b32_e32 v6, v14, v6, vcc
	v_and_b32_e32 v14, 7, v6
	v_cmp_lt_i32_e32 vcc, 5, v14
	v_cmp_eq_u32_e64 s[0:1], 3, v14
	v_cvt_f32_f16_e32 v2, v2
	v_lshrrev_b32_e32 v6, 2, v6
	s_or_b64 vcc, s[0:1], vcc
	v_addc_co_u32_e32 v6, vcc, 0, v6, vcc
	v_cmp_gt_i32_e32 vcc, 31, v12
	v_cvt_f64_f32_e32 v[2:3], v2
	v_mul_f64 v[2:3], v[2:3], s[10:11]
	v_cndmask_b32_e32 v6, v8, v6, vcc
	v_cmp_ne_u32_e32 vcc, 0, v4
	v_and_or_b32 v2, v3, s17, v2
	v_lshl_add_u64 v[0:1], v[0:1], 0, s[12:13]
	v_cndmask_b32_e64 v4, 0, 1, vcc
	v_lshl_or_b32 v4, v4, 9, v8
	v_cmp_eq_u32_e32 vcc, s14, v12
	v_lshrrev_b32_e32 v12, 8, v3
	s_nop 0
	v_cndmask_b32_e32 v4, v6, v4, vcc
	v_cmp_ne_u32_e32 vcc, 0, v2
	v_and_b32_sdwa v6, v13, s15 dst_sel:DWORD dst_unused:UNUSED_PAD src0_sel:WORD_1 src1_sel:DWORD
	v_bfe_u32 v13, v3, 20, 11
	v_cndmask_b32_e64 v2, 0, 1, vcc
	v_and_or_b32 v2, v12, s16, v2
	v_sub_u32_e32 v14, 0x3f1, v13
	v_or_b32_e32 v12, 0x1000, v2
	v_med3_i32 v14, v14, 0, 13
	v_lshrrev_b32_e32 v15, v14, v12
	v_lshlrev_b32_e32 v14, v14, v15
	v_cmp_ne_u32_e32 vcc, v14, v12
	v_add_u32_e32 v13, 0xfffffc10, v13
	v_lshl_or_b32 v14, v13, 12, v2
	v_cndmask_b32_e64 v12, 0, 1, vcc
	v_or_b32_e32 v12, v15, v12
	v_cmp_gt_i32_e32 vcc, 1, v13
	v_lshrrev_b32_e32 v3, 16, v3
	s_nop 0
	v_cndmask_b32_e32 v12, v14, v12, vcc
	v_and_b32_e32 v14, 7, v12
	v_cmp_lt_i32_e32 vcc, 5, v14
	v_cmp_eq_u32_e64 s[0:1], 3, v14
	v_lshrrev_b32_e32 v12, 2, v12
	s_or_b64 vcc, s[0:1], vcc
	v_addc_co_u32_e32 v12, vcc, 0, v12, vcc
	v_cmp_gt_i32_e32 vcc, 31, v13
	s_nop 1
	v_cndmask_b32_e32 v12, v8, v12, vcc
	v_cmp_ne_u32_e32 vcc, 0, v2
	s_nop 1
	v_cndmask_b32_e64 v2, 0, 1, vcc
	v_lshl_or_b32 v2, v2, 9, v8
	v_cmp_eq_u32_e32 vcc, s14, v13
	s_nop 1
	v_cndmask_b32_e32 v2, v12, v2, vcc
	v_and_or_b32 v2, v3, s15, v2
	v_bitop3_b32 v3, v6, s18, v4 bitop3:0xc8
	v_lshrrev_b32_e32 v4, 16, v5
	v_mul_f16_sdwa v6, v119, v4 dst_sel:DWORD dst_unused:UNUSED_PAD src0_sel:WORD_1 src1_sel:DWORD
	v_fma_f16 v6, v119, v5, v6
	v_cvt_f32_f16_e32 v6, v6
	v_lshl_or_b32 v2, v2, 16, v3
	global_store_dword v[0:1], v2, off
	v_mul_f16_sdwa v5, v119, v5 dst_sel:DWORD dst_unused:UNUSED_PAD src0_sel:WORD_1 src1_sel:DWORD
	v_cvt_f64_f32_e32 v[2:3], v6
	v_mul_f64 v[2:3], v[2:3], s[10:11]
	v_and_or_b32 v2, v3, s17, v2
	v_cmp_ne_u32_e32 vcc, 0, v2
	v_lshrrev_b32_e32 v6, 8, v3
	v_bfe_u32 v12, v3, 20, 11
	v_cndmask_b32_e64 v2, 0, 1, vcc
	v_and_or_b32 v2, v6, s16, v2
	v_sub_u32_e32 v13, 0x3f1, v12
	v_or_b32_e32 v6, 0x1000, v2
	v_med3_i32 v13, v13, 0, 13
	v_lshrrev_b32_e32 v14, v13, v6
	v_lshlrev_b32_e32 v13, v13, v14
	v_cmp_ne_u32_e32 vcc, v13, v6
	v_add_u32_e32 v12, 0xfffffc10, v12
	v_lshl_or_b32 v13, v12, 12, v2
	v_cndmask_b32_e64 v6, 0, 1, vcc
	v_or_b32_e32 v6, v14, v6
	v_cmp_gt_i32_e32 vcc, 1, v12
	v_fma_f16 v4, v119, v4, -v5
	v_cvt_f32_f16_e32 v4, v4
	v_cndmask_b32_e32 v6, v13, v6, vcc
	v_and_b32_e32 v13, 7, v6
	v_cmp_lt_i32_e32 vcc, 5, v13
	v_cmp_eq_u32_e64 s[0:1], 3, v13
	v_lshrrev_b32_e32 v6, 2, v6
	s_or_b64 vcc, s[0:1], vcc
	v_addc_co_u32_e32 v6, vcc, 0, v6, vcc
	v_cmp_gt_i32_e32 vcc, 31, v12
	s_nop 1
	v_cndmask_b32_e32 v6, v8, v6, vcc
	v_cmp_ne_u32_e32 vcc, 0, v2
	s_nop 1
	v_cndmask_b32_e64 v2, 0, 1, vcc
	v_lshl_or_b32 v2, v2, 9, v8
	v_cmp_eq_u32_e32 vcc, s14, v12
	s_nop 1
	v_cndmask_b32_e32 v5, v6, v2, vcc
	v_and_b32_sdwa v6, v3, s15 dst_sel:DWORD dst_unused:UNUSED_PAD src0_sel:WORD_1 src1_sel:DWORD
	v_cvt_f64_f32_e32 v[2:3], v4
	v_mul_f64 v[2:3], v[2:3], s[10:11]
	v_and_or_b32 v2, v3, s17, v2
	v_cmp_ne_u32_e32 vcc, 0, v2
	v_lshrrev_b32_e32 v4, 8, v3
	v_bfe_u32 v12, v3, 20, 11
	v_cndmask_b32_e64 v2, 0, 1, vcc
	v_and_or_b32 v2, v4, s16, v2
	v_sub_u32_e32 v13, 0x3f1, v12
	v_or_b32_e32 v4, 0x1000, v2
	v_med3_i32 v13, v13, 0, 13
	v_lshrrev_b32_e32 v14, v13, v4
	v_lshlrev_b32_e32 v13, v13, v14
	v_cmp_ne_u32_e32 vcc, v13, v4
	v_add_u32_e32 v12, 0xfffffc10, v12
	v_lshl_or_b32 v13, v12, 12, v2
	v_cndmask_b32_e64 v4, 0, 1, vcc
	v_or_b32_e32 v4, v14, v4
	v_cmp_gt_i32_e32 vcc, 1, v12
	v_lshrrev_b32_e32 v3, 16, v3
	s_nop 0
	v_cndmask_b32_e32 v4, v13, v4, vcc
	v_and_b32_e32 v13, 7, v4
	v_cmp_lt_i32_e32 vcc, 5, v13
	v_cmp_eq_u32_e64 s[0:1], 3, v13
	v_lshrrev_b32_e32 v4, 2, v4
	s_or_b64 vcc, s[0:1], vcc
	v_addc_co_u32_e32 v4, vcc, 0, v4, vcc
	v_cmp_gt_i32_e32 vcc, 31, v12
	s_nop 1
	v_cndmask_b32_e32 v4, v8, v4, vcc
	v_cmp_ne_u32_e32 vcc, 0, v2
	s_nop 1
	v_cndmask_b32_e64 v2, 0, 1, vcc
	v_lshl_or_b32 v2, v2, 9, v8
	v_cmp_eq_u32_e32 vcc, s14, v12
	s_nop 1
	v_cndmask_b32_e32 v2, v4, v2, vcc
	v_lshrrev_b32_e32 v4, 16, v7
	v_and_or_b32 v2, v3, s15, v2
	v_bitop3_b32 v3, v6, s18, v5 bitop3:0xc8
	v_mul_f16_sdwa v5, v118, v4 dst_sel:DWORD dst_unused:UNUSED_PAD src0_sel:WORD_1 src1_sel:DWORD
	v_fma_f16 v5, v118, v7, v5
	v_cvt_f32_f16_e32 v5, v5
	v_lshl_or_b32 v6, v2, 16, v3
	v_lshl_add_u64 v[2:3], v[0:1], 0, s[12:13]
	global_store_dword v[2:3], v6, off
	v_cvt_f64_f32_e32 v[0:1], v5
	v_mul_f64 v[0:1], v[0:1], s[10:11]
	v_and_or_b32 v0, v1, s17, v0
	v_cmp_ne_u32_e32 vcc, 0, v0
	v_lshrrev_b32_e32 v5, 8, v1
	v_bfe_u32 v6, v1, 20, 11
	v_cndmask_b32_e64 v0, 0, 1, vcc
	v_and_or_b32 v0, v5, s16, v0
	v_sub_u32_e32 v12, 0x3f1, v6
	v_or_b32_e32 v5, 0x1000, v0
	v_med3_i32 v12, v12, 0, 13
	v_lshrrev_b32_e32 v13, v12, v5
	v_lshlrev_b32_e32 v12, v12, v13
	v_cmp_ne_u32_e32 vcc, v12, v5
	v_add_u32_e32 v6, 0xfffffc10, v6
	v_lshl_or_b32 v12, v6, 12, v0
	v_cndmask_b32_e64 v5, 0, 1, vcc
	v_or_b32_e32 v5, v13, v5
	v_cmp_gt_i32_e32 vcc, 1, v6
	v_mul_f16_sdwa v7, v118, v7 dst_sel:DWORD dst_unused:UNUSED_PAD src0_sel:WORD_1 src1_sel:DWORD
	v_fma_f16 v4, v118, v4, -v7
	v_cndmask_b32_e32 v5, v12, v5, vcc
	v_and_b32_e32 v12, 7, v5
	v_cmp_lt_i32_e32 vcc, 5, v12
	v_cmp_eq_u32_e64 s[0:1], 3, v12
	v_lshrrev_b32_e32 v5, 2, v5
	s_or_b64 vcc, s[0:1], vcc
	v_addc_co_u32_e32 v5, vcc, 0, v5, vcc
	v_cmp_gt_i32_e32 vcc, 31, v6
	v_cvt_f32_f16_e32 v4, v4
	v_and_b32_sdwa v7, v1, s15 dst_sel:DWORD dst_unused:UNUSED_PAD src0_sel:WORD_1 src1_sel:DWORD
	v_cndmask_b32_e32 v5, v8, v5, vcc
	v_cmp_ne_u32_e32 vcc, 0, v0
	s_nop 1
	v_cndmask_b32_e64 v0, 0, 1, vcc
	v_lshl_or_b32 v0, v0, 9, v8
	v_cmp_eq_u32_e32 vcc, s14, v6
	s_nop 1
	v_cndmask_b32_e32 v6, v5, v0, vcc
	v_cvt_f64_f32_e32 v[0:1], v4
	v_mul_f64 v[4:5], v[0:1], s[10:11]
	v_and_or_b32 v0, v5, s17, v4
	v_cmp_ne_u32_e32 vcc, 0, v0
	v_lshrrev_b32_e32 v1, 8, v5
	v_bfe_u32 v4, v5, 20, 11
	v_cndmask_b32_e64 v0, 0, 1, vcc
	v_and_or_b32 v0, v1, s16, v0
	v_sub_u32_e32 v12, 0x3f1, v4
	v_or_b32_e32 v1, 0x1000, v0
	v_med3_i32 v12, v12, 0, 13
	v_lshrrev_b32_e32 v13, v12, v1
	v_lshlrev_b32_e32 v12, v12, v13
	v_cmp_ne_u32_e32 vcc, v12, v1
	v_add_u32_e32 v4, 0xfffffc10, v4
	v_lshl_or_b32 v12, v4, 12, v0
	v_cndmask_b32_e64 v1, 0, 1, vcc
	v_or_b32_e32 v1, v13, v1
	v_cmp_gt_i32_e32 vcc, 1, v4
	v_lshrrev_b32_e32 v5, 16, v5
	s_nop 0
	v_cndmask_b32_e32 v1, v12, v1, vcc
	v_and_b32_e32 v12, 7, v1
	v_cmp_lt_i32_e32 vcc, 5, v12
	v_cmp_eq_u32_e64 s[0:1], 3, v12
	v_lshrrev_b32_e32 v1, 2, v1
	s_or_b64 vcc, s[0:1], vcc
	v_addc_co_u32_e32 v1, vcc, 0, v1, vcc
	v_cmp_gt_i32_e32 vcc, 31, v4
	s_nop 1
	v_cndmask_b32_e32 v12, v8, v1, vcc
	v_cmp_ne_u32_e32 vcc, 0, v0
	s_nop 1
	v_cndmask_b32_e64 v0, 0, 1, vcc
	v_lshl_or_b32 v13, v0, 9, v8
	ds_read2st64_b32 v[0:1], v82 offset0:28 offset1:35
	v_cmp_eq_u32_e32 vcc, s14, v4
	s_nop 1
	v_cndmask_b32_e32 v4, v12, v13, vcc
	v_and_or_b32 v4, v5, s15, v4
	v_bitop3_b32 v5, v7, s18, v6 bitop3:0xc8
	s_waitcnt lgkmcnt(0)
	v_lshrrev_b32_e32 v6, 16, v0
	v_mul_f16_sdwa v7, v117, v6 dst_sel:DWORD dst_unused:UNUSED_PAD src0_sel:WORD_1 src1_sel:DWORD
	v_fma_f16 v7, v117, v0, v7
	v_cvt_f32_f16_e32 v7, v7
	v_lshl_or_b32 v12, v4, 16, v5
	v_lshl_add_u64 v[4:5], v[2:3], 0, s[12:13]
	global_store_dword v[4:5], v12, off
	v_cvt_f64_f32_e32 v[2:3], v7
	v_mul_f64 v[2:3], v[2:3], s[10:11]
	v_and_or_b32 v2, v3, s17, v2
	v_cmp_ne_u32_e32 vcc, 0, v2
	v_lshrrev_b32_e32 v7, 8, v3
	v_bfe_u32 v12, v3, 20, 11
	v_cndmask_b32_e64 v2, 0, 1, vcc
	v_and_or_b32 v2, v7, s16, v2
	v_sub_u32_e32 v13, 0x3f1, v12
	v_or_b32_e32 v7, 0x1000, v2
	v_med3_i32 v13, v13, 0, 13
	v_lshrrev_b32_e32 v14, v13, v7
	v_lshlrev_b32_e32 v13, v13, v14
	v_cmp_ne_u32_e32 vcc, v13, v7
	v_add_u32_e32 v12, 0xfffffc10, v12
	v_lshl_or_b32 v13, v12, 12, v2
	v_cndmask_b32_e64 v7, 0, 1, vcc
	v_or_b32_e32 v7, v14, v7
	v_cmp_gt_i32_e32 vcc, 1, v12
	v_mul_f16_sdwa v0, v117, v0 dst_sel:DWORD dst_unused:UNUSED_PAD src0_sel:WORD_1 src1_sel:DWORD
	v_fma_f16 v0, v117, v6, -v0
	v_cndmask_b32_e32 v7, v13, v7, vcc
	v_and_b32_e32 v13, 7, v7
	v_cmp_lt_i32_e32 vcc, 5, v13
	v_cmp_eq_u32_e64 s[0:1], 3, v13
	v_lshrrev_b32_e32 v7, 2, v7
	s_or_b64 vcc, s[0:1], vcc
	v_addc_co_u32_e32 v7, vcc, 0, v7, vcc
	v_cmp_gt_i32_e32 vcc, 31, v12
	v_cvt_f32_f16_e32 v0, v0
	v_and_b32_sdwa v13, v3, s15 dst_sel:DWORD dst_unused:UNUSED_PAD src0_sel:WORD_1 src1_sel:DWORD
	v_cndmask_b32_e32 v7, v8, v7, vcc
	v_cmp_ne_u32_e32 vcc, 0, v2
	s_nop 1
	v_cndmask_b32_e64 v2, 0, 1, vcc
	v_lshl_or_b32 v2, v2, 9, v8
	v_cmp_eq_u32_e32 vcc, s14, v12
	s_nop 1
	v_cndmask_b32_e32 v12, v7, v2, vcc
	v_cvt_f64_f32_e32 v[2:3], v0
	v_mul_f64 v[6:7], v[2:3], s[10:11]
	v_and_or_b32 v0, v7, s17, v6
	v_cmp_ne_u32_e32 vcc, 0, v0
	v_lshrrev_b32_e32 v2, 8, v7
	v_bfe_u32 v3, v7, 20, 11
	v_cndmask_b32_e64 v0, 0, 1, vcc
	v_and_or_b32 v0, v2, s16, v0
	v_sub_u32_e32 v6, 0x3f1, v3
	v_or_b32_e32 v2, 0x1000, v0
	v_med3_i32 v6, v6, 0, 13
	v_lshrrev_b32_e32 v14, v6, v2
	v_lshlrev_b32_e32 v6, v6, v14
	v_cmp_ne_u32_e32 vcc, v6, v2
	v_add_u32_e32 v6, 0xfffffc10, v3
	v_lshl_or_b32 v3, v6, 12, v0
	v_cndmask_b32_e64 v2, 0, 1, vcc
	v_or_b32_e32 v2, v14, v2
	v_cmp_gt_i32_e32 vcc, 1, v6
	s_nop 1
	v_cndmask_b32_e32 v2, v3, v2, vcc
	v_and_b32_e32 v3, 7, v2
	v_cmp_lt_i32_e32 vcc, 5, v3
	v_cmp_eq_u32_e64 s[0:1], 3, v3
	v_lshrrev_b32_e32 v2, 2, v2
	s_or_b64 vcc, s[0:1], vcc
	v_addc_co_u32_e32 v2, vcc, 0, v2, vcc
	v_cmp_gt_i32_e32 vcc, 31, v6
	s_nop 1
	v_cndmask_b32_e32 v14, v8, v2, vcc
	ds_read2st64_b32 v[2:3], v9 offset0:71 offset1:78
	v_cmp_ne_u32_e32 vcc, 0, v0
	s_waitcnt lgkmcnt(0)
	v_lshrrev_b32_e32 v9, 16, v2
	v_cndmask_b32_e64 v0, 0, 1, vcc
	v_lshl_or_b32 v0, v0, 9, v8
	v_cmp_eq_u32_e32 vcc, s14, v6
	v_lshrrev_b32_e32 v6, 16, v7
	v_mul_f16_sdwa v7, v116, v9 dst_sel:DWORD dst_unused:UNUSED_PAD src0_sel:WORD_1 src1_sel:DWORD
	v_cndmask_b32_e32 v0, v14, v0, vcc
	v_fma_f16 v7, v116, v2, v7
	v_and_or_b32 v0, v6, s15, v0
	v_bitop3_b32 v6, v13, s18, v12 bitop3:0xc8
	v_cvt_f32_f16_e32 v12, v7
	v_lshl_or_b32 v0, v0, 16, v6
	v_lshl_add_u64 v[6:7], v[4:5], 0, s[4:5]
	global_store_dword v[6:7], v0, off
	v_cvt_f64_f32_e32 v[4:5], v12
	v_mul_f64 v[4:5], v[4:5], s[10:11]
	v_and_or_b32 v0, v5, s17, v4
	v_cmp_ne_u32_e32 vcc, 0, v0
	v_lshrrev_b32_e32 v4, 8, v5
	v_bfe_u32 v12, v5, 20, 11
	v_cndmask_b32_e64 v0, 0, 1, vcc
	v_and_or_b32 v0, v4, s16, v0
	v_sub_u32_e32 v13, 0x3f1, v12
	v_or_b32_e32 v4, 0x1000, v0
	v_med3_i32 v13, v13, 0, 13
	v_lshrrev_b32_e32 v14, v13, v4
	v_lshlrev_b32_e32 v13, v13, v14
	v_cmp_ne_u32_e32 vcc, v13, v4
	v_add_u32_e32 v12, 0xfffffc10, v12
	v_lshl_or_b32 v13, v12, 12, v0
	v_cndmask_b32_e64 v4, 0, 1, vcc
	v_or_b32_e32 v4, v14, v4
	v_cmp_gt_i32_e32 vcc, 1, v12
	v_mul_f16_sdwa v2, v116, v2 dst_sel:DWORD dst_unused:UNUSED_PAD src0_sel:WORD_1 src1_sel:DWORD
	v_fma_f16 v2, v116, v9, -v2
	v_cndmask_b32_e32 v4, v13, v4, vcc
	v_and_b32_e32 v13, 7, v4
	v_cmp_lt_i32_e32 vcc, 5, v13
	v_cmp_eq_u32_e64 s[0:1], 3, v13
	v_lshrrev_b32_e32 v4, 2, v4
	s_or_b64 vcc, s[0:1], vcc
	v_addc_co_u32_e32 v4, vcc, 0, v4, vcc
	v_cmp_gt_i32_e32 vcc, 31, v12
	v_cvt_f32_f16_e32 v2, v2
	v_and_b32_sdwa v9, v5, s15 dst_sel:DWORD dst_unused:UNUSED_PAD src0_sel:WORD_1 src1_sel:DWORD
	v_cndmask_b32_e32 v4, v8, v4, vcc
	v_cmp_ne_u32_e32 vcc, 0, v0
	s_nop 1
	v_cndmask_b32_e64 v0, 0, 1, vcc
	v_lshl_or_b32 v0, v0, 9, v8
	v_cmp_eq_u32_e32 vcc, s14, v12
	s_nop 1
	v_cndmask_b32_e32 v0, v4, v0, vcc
	v_cvt_f64_f32_e32 v[4:5], v2
	v_mul_f64 v[12:13], v[4:5], s[10:11]
	v_and_or_b32 v2, v13, s17, v12
	v_cmp_ne_u32_e32 vcc, 0, v2
	v_lshrrev_b32_e32 v4, 8, v13
	v_bfe_u32 v5, v13, 20, 11
	v_cndmask_b32_e64 v2, 0, 1, vcc
	v_and_or_b32 v2, v4, s16, v2
	v_sub_u32_e32 v12, 0x3f1, v5
	v_or_b32_e32 v4, 0x1000, v2
	v_med3_i32 v12, v12, 0, 13
	v_lshrrev_b32_e32 v14, v12, v4
	v_lshlrev_b32_e32 v12, v12, v14
	v_cmp_ne_u32_e32 vcc, v12, v4
	v_add_u32_e32 v12, 0xfffffc10, v5
	v_lshl_or_b32 v5, v12, 12, v2
	v_cndmask_b32_e64 v4, 0, 1, vcc
	v_or_b32_e32 v4, v14, v4
	v_cmp_gt_i32_e32 vcc, 1, v12
	v_bitop3_b32 v0, v9, s18, v0 bitop3:0xc8
	s_nop 0
	v_cndmask_b32_e32 v4, v5, v4, vcc
	v_and_b32_e32 v5, 7, v4
	v_cmp_lt_i32_e32 vcc, 5, v5
	v_cmp_eq_u32_e64 s[0:1], 3, v5
	v_lshrrev_b32_e32 v4, 2, v4
	s_or_b64 vcc, s[0:1], vcc
	v_addc_co_u32_e32 v4, vcc, 0, v4, vcc
	v_cmp_gt_i32_e32 vcc, 31, v12
	s_nop 1
	v_cndmask_b32_e32 v14, v8, v4, vcc
	ds_read2st64_b32 v[4:5], v10 offset0:115 offset1:122
	v_cmp_ne_u32_e32 vcc, 0, v2
	v_lshrrev_b32_e32 v10, 16, v13
	s_waitcnt lgkmcnt(0)
	v_lshrrev_b32_e32 v9, 16, v4
	v_cndmask_b32_e64 v2, 0, 1, vcc
	v_lshl_or_b32 v2, v2, 9, v8
	v_cmp_eq_u32_e32 vcc, s14, v12
	v_lshl_add_u64 v[12:13], v[6:7], 0, s[12:13]
	s_nop 0
	v_cndmask_b32_e32 v2, v14, v2, vcc
	v_and_or_b32 v2, v10, s15, v2
	v_mul_f16_sdwa v10, v115, v9 dst_sel:DWORD dst_unused:UNUSED_PAD src0_sel:WORD_1 src1_sel:DWORD
	v_fma_f16 v10, v115, v4, v10
	v_cvt_f32_f16_e32 v10, v10
	v_lshl_or_b32 v0, v2, 16, v0
	global_store_dword v[12:13], v0, off
	v_mul_f16_sdwa v4, v115, v4 dst_sel:DWORD dst_unused:UNUSED_PAD src0_sel:WORD_1 src1_sel:DWORD
	v_cvt_f64_f32_e32 v[6:7], v10
	v_mul_f64 v[6:7], v[6:7], s[10:11]
	v_and_or_b32 v0, v7, s17, v6
	v_cmp_ne_u32_e32 vcc, 0, v0
	v_lshrrev_b32_e32 v2, 8, v7
	v_bfe_u32 v6, v7, 20, 11
	v_cndmask_b32_e64 v0, 0, 1, vcc
	v_and_or_b32 v0, v2, s16, v0
	v_sub_u32_e32 v10, 0x3f1, v6
	v_or_b32_e32 v2, 0x1000, v0
	v_med3_i32 v10, v10, 0, 13
	v_lshrrev_b32_e32 v14, v10, v2
	v_lshlrev_b32_e32 v10, v10, v14
	v_cmp_ne_u32_e32 vcc, v10, v2
	v_add_u32_e32 v6, 0xfffffc10, v6
	v_lshl_or_b32 v10, v6, 12, v0
	v_cndmask_b32_e64 v2, 0, 1, vcc
	v_or_b32_e32 v2, v14, v2
	v_cmp_gt_i32_e32 vcc, 1, v6
	v_fma_f16 v4, v115, v9, -v4
	v_cvt_f32_f16_e32 v4, v4
	v_cndmask_b32_e32 v2, v10, v2, vcc
	v_and_b32_e32 v10, 7, v2
	v_cmp_lt_i32_e32 vcc, 5, v10
	v_cmp_eq_u32_e64 s[0:1], 3, v10
	v_lshrrev_b32_e32 v2, 2, v2
	s_or_b64 vcc, s[0:1], vcc
	v_addc_co_u32_e32 v2, vcc, 0, v2, vcc
	v_cmp_gt_i32_e32 vcc, 31, v6
	s_nop 1
	v_cndmask_b32_e32 v2, v8, v2, vcc
	v_cmp_ne_u32_e32 vcc, 0, v0
	s_nop 1
	v_cndmask_b32_e64 v0, 0, 1, vcc
	v_lshl_or_b32 v0, v0, 9, v8
	v_cmp_eq_u32_e32 vcc, s14, v6
	s_nop 1
	v_cndmask_b32_e32 v0, v2, v0, vcc
	v_and_b32_sdwa v2, v7, s15 dst_sel:DWORD dst_unused:UNUSED_PAD src0_sel:WORD_1 src1_sel:DWORD
	v_cvt_f64_f32_e32 v[6:7], v4
	v_mul_f64 v[14:15], v[6:7], s[10:11]
	v_and_or_b32 v4, v15, s17, v14
	v_cmp_ne_u32_e32 vcc, 0, v4
	v_lshrrev_b32_e32 v6, 8, v15
	v_bfe_u32 v7, v15, 20, 11
	v_cndmask_b32_e64 v4, 0, 1, vcc
	v_and_or_b32 v4, v6, s16, v4
	v_sub_u32_e32 v9, 0x3f1, v7
	v_or_b32_e32 v6, 0x1000, v4
	v_med3_i32 v9, v9, 0, 13
	v_lshrrev_b32_e32 v10, v9, v6
	v_lshlrev_b32_e32 v9, v9, v10
	v_cmp_ne_u32_e32 vcc, v9, v6
	v_add_u32_e32 v9, 0xfffffc10, v7
	v_lshl_or_b32 v7, v9, 12, v4
	v_cndmask_b32_e64 v6, 0, 1, vcc
	v_or_b32_e32 v6, v10, v6
	v_cmp_gt_i32_e32 vcc, 1, v9
	v_bitop3_b32 v0, v2, s18, v0 bitop3:0xc8
	s_nop 0
	v_cndmask_b32_e32 v6, v7, v6, vcc
	v_and_b32_e32 v7, 7, v6
	v_cmp_lt_i32_e32 vcc, 5, v7
	v_cmp_eq_u32_e64 s[0:1], 3, v7
	v_lshrrev_b32_e32 v6, 2, v6
	s_or_b64 vcc, s[0:1], vcc
	v_addc_co_u32_e32 v6, vcc, 0, v6, vcc
	v_cmp_gt_i32_e32 vcc, 31, v9
	s_nop 1
	v_cndmask_b32_e32 v10, v8, v6, vcc
	ds_read2st64_b32 v[6:7], v11 offset0:159 offset1:166
	v_cmp_ne_u32_e32 vcc, 0, v4
	s_waitcnt lgkmcnt(0)
	v_lshrrev_b32_e32 v2, 16, v6
	v_cndmask_b32_e64 v4, 0, 1, vcc
	v_lshl_or_b32 v4, v4, 9, v8
	v_cmp_eq_u32_e32 vcc, s14, v9
	v_lshrrev_b32_e32 v9, 16, v15
	s_nop 0
	v_cndmask_b32_e32 v4, v10, v4, vcc
	v_and_or_b32 v4, v9, s15, v4
	v_mul_f16_sdwa v9, v114, v2 dst_sel:DWORD dst_unused:UNUSED_PAD src0_sel:WORD_1 src1_sel:DWORD
	v_fma_f16 v9, v114, v6, v9
	v_cvt_f32_f16_e32 v9, v9
	v_lshl_add_u64 v[10:11], v[12:13], 0, s[12:13]
	v_lshl_or_b32 v0, v4, 16, v0
	global_store_dword v[10:11], v0, off
	v_cvt_f64_f32_e32 v[12:13], v9
	v_mul_f64 v[12:13], v[12:13], s[10:11]
	v_and_or_b32 v0, v13, s17, v12
	v_cmp_ne_u32_e32 vcc, 0, v0
	v_lshrrev_b32_e32 v4, 8, v13
	v_bfe_u32 v9, v13, 20, 11
	v_cndmask_b32_e64 v0, 0, 1, vcc
	v_and_or_b32 v0, v4, s16, v0
	v_sub_u32_e32 v12, 0x3f1, v9
	v_or_b32_e32 v4, 0x1000, v0
	v_med3_i32 v12, v12, 0, 13
	v_lshrrev_b32_e32 v14, v12, v4
	v_lshlrev_b32_e32 v12, v12, v14
	v_cmp_ne_u32_e32 vcc, v12, v4
	v_add_u32_e32 v9, 0xfffffc10, v9
	v_lshl_or_b32 v12, v9, 12, v0
	v_cndmask_b32_e64 v4, 0, 1, vcc
	v_or_b32_e32 v4, v14, v4
	v_cmp_gt_i32_e32 vcc, 1, v9
	v_mul_f16_sdwa v6, v114, v6 dst_sel:DWORD dst_unused:UNUSED_PAD src0_sel:WORD_1 src1_sel:DWORD
	v_fma_f16 v2, v114, v2, -v6
	v_cndmask_b32_e32 v4, v12, v4, vcc
	v_and_b32_e32 v12, 7, v4
	v_cmp_lt_i32_e32 vcc, 5, v12
	v_cmp_eq_u32_e64 s[0:1], 3, v12
	v_lshrrev_b32_e32 v4, 2, v4
	s_or_b64 vcc, s[0:1], vcc
	v_addc_co_u32_e32 v4, vcc, 0, v4, vcc
	v_cmp_gt_i32_e32 vcc, 31, v9
	v_cvt_f32_f16_e32 v2, v2
	v_lshl_add_u64 v[10:11], v[10:11], 0, s[12:13]
	v_cndmask_b32_e32 v4, v8, v4, vcc
	v_cmp_ne_u32_e32 vcc, 0, v0
	s_nop 1
	v_cndmask_b32_e64 v0, 0, 1, vcc
	v_lshl_or_b32 v0, v0, 9, v8
	v_cmp_eq_u32_e32 vcc, s14, v9
	s_nop 1
	v_cndmask_b32_e32 v0, v4, v0, vcc
	v_and_b32_sdwa v4, v13, s15 dst_sel:DWORD dst_unused:UNUSED_PAD src0_sel:WORD_1 src1_sel:DWORD
	v_cvt_f64_f32_e32 v[12:13], v2
	v_mul_f64 v[12:13], v[12:13], s[10:11]
	v_and_or_b32 v2, v13, s17, v12
	v_cmp_ne_u32_e32 vcc, 0, v2
	v_lshrrev_b32_e32 v6, 8, v13
	v_bfe_u32 v9, v13, 20, 11
	v_cndmask_b32_e64 v2, 0, 1, vcc
	v_and_or_b32 v2, v6, s16, v2
	v_sub_u32_e32 v12, 0x3f1, v9
	v_or_b32_e32 v6, 0x1000, v2
	v_med3_i32 v12, v12, 0, 13
	v_lshrrev_b32_e32 v14, v12, v6
	v_lshlrev_b32_e32 v12, v12, v14
	v_cmp_ne_u32_e32 vcc, v12, v6
	v_add_u32_e32 v9, 0xfffffc10, v9
	v_lshl_or_b32 v12, v9, 12, v2
	v_cndmask_b32_e64 v6, 0, 1, vcc
	v_or_b32_e32 v6, v14, v6
	v_cmp_gt_i32_e32 vcc, 1, v9
	v_bitop3_b32 v0, v4, s18, v0 bitop3:0xc8
	v_lshrrev_b32_e32 v4, 16, v1
	v_cndmask_b32_e32 v6, v12, v6, vcc
	v_and_b32_e32 v12, 7, v6
	v_cmp_lt_i32_e32 vcc, 5, v12
	v_cmp_eq_u32_e64 s[0:1], 3, v12
	v_lshrrev_b32_e32 v6, 2, v6
	s_or_b64 vcc, s[0:1], vcc
	v_addc_co_u32_e32 v6, vcc, 0, v6, vcc
	v_cmp_gt_i32_e32 vcc, 31, v9
	s_nop 1
	v_cndmask_b32_e32 v6, v8, v6, vcc
	v_cmp_ne_u32_e32 vcc, 0, v2
	s_nop 1
	v_cndmask_b32_e64 v2, 0, 1, vcc
	v_lshl_or_b32 v2, v2, 9, v8
	v_cmp_eq_u32_e32 vcc, s14, v9
	s_nop 1
	v_cndmask_b32_e32 v2, v6, v2, vcc
	v_lshrrev_b32_e32 v6, 16, v13
	v_and_or_b32 v2, v6, s15, v2
	v_mul_f16_sdwa v6, v83, v4 dst_sel:DWORD dst_unused:UNUSED_PAD src0_sel:WORD_1 src1_sel:DWORD
	v_fma_f16 v6, v83, v1, v6
	v_cvt_f32_f16_e32 v6, v6
	v_lshl_or_b32 v0, v2, 16, v0
	global_store_dword v[10:11], v0, off
	v_mul_f16_sdwa v1, v83, v1 dst_sel:DWORD dst_unused:UNUSED_PAD src0_sel:WORD_1 src1_sel:DWORD
	v_cvt_f64_f32_e32 v[12:13], v6
	v_mul_f64 v[12:13], v[12:13], s[10:11]
	v_and_or_b32 v0, v13, s17, v12
	v_cmp_ne_u32_e32 vcc, 0, v0
	v_lshrrev_b32_e32 v2, 8, v13
	v_bfe_u32 v6, v13, 20, 11
	v_cndmask_b32_e64 v0, 0, 1, vcc
	v_and_or_b32 v0, v2, s16, v0
	v_sub_u32_e32 v9, 0x3f1, v6
	v_or_b32_e32 v2, 0x1000, v0
	v_med3_i32 v9, v9, 0, 13
	v_lshrrev_b32_e32 v12, v9, v2
	v_lshlrev_b32_e32 v9, v9, v12
	v_cmp_ne_u32_e32 vcc, v9, v2
	v_add_u32_e32 v6, 0xfffffc10, v6
	v_lshl_or_b32 v9, v6, 12, v0
	v_cndmask_b32_e64 v2, 0, 1, vcc
	v_or_b32_e32 v2, v12, v2
	v_cmp_gt_i32_e32 vcc, 1, v6
	v_fma_f16 v1, v83, v4, -v1
	v_cvt_f32_f16_e32 v1, v1
	v_cndmask_b32_e32 v2, v9, v2, vcc
	v_and_b32_e32 v9, 7, v2
	v_cmp_lt_i32_e32 vcc, 5, v9
	v_cmp_eq_u32_e64 s[0:1], 3, v9
	v_lshrrev_b32_e32 v2, 2, v2
	s_or_b64 vcc, s[0:1], vcc
	v_addc_co_u32_e32 v2, vcc, 0, v2, vcc
	v_cmp_gt_i32_e32 vcc, 31, v6
	v_and_b32_sdwa v4, v13, s15 dst_sel:DWORD dst_unused:UNUSED_PAD src0_sel:WORD_1 src1_sel:DWORD
	s_nop 0
	v_cndmask_b32_e32 v2, v8, v2, vcc
	v_cmp_ne_u32_e32 vcc, 0, v0
	s_nop 1
	v_cndmask_b32_e64 v0, 0, 1, vcc
	v_lshl_or_b32 v0, v0, 9, v8
	v_cmp_eq_u32_e32 vcc, s14, v6
	s_nop 1
	v_cndmask_b32_e32 v2, v2, v0, vcc
	v_cvt_f64_f32_e32 v[0:1], v1
	v_mul_f64 v[0:1], v[0:1], s[10:11]
	v_and_or_b32 v0, v1, s17, v0
	v_cmp_ne_u32_e32 vcc, 0, v0
	v_lshrrev_b32_e32 v6, 8, v1
	v_bfe_u32 v9, v1, 20, 11
	v_cndmask_b32_e64 v0, 0, 1, vcc
	v_and_or_b32 v0, v6, s16, v0
	v_sub_u32_e32 v12, 0x3f1, v9
	v_or_b32_e32 v6, 0x1000, v0
	v_med3_i32 v12, v12, 0, 13
	v_lshrrev_b32_e32 v13, v12, v6
	v_lshlrev_b32_e32 v12, v12, v13
	v_cmp_ne_u32_e32 vcc, v12, v6
	v_add_u32_e32 v9, 0xfffffc10, v9
	v_lshl_or_b32 v12, v9, 12, v0
	v_cndmask_b32_e64 v6, 0, 1, vcc
	v_or_b32_e32 v6, v13, v6
	v_cmp_gt_i32_e32 vcc, 1, v9
	v_lshrrev_b32_e32 v1, 16, v1
	s_nop 0
	v_cndmask_b32_e32 v6, v12, v6, vcc
	v_and_b32_e32 v12, 7, v6
	v_cmp_lt_i32_e32 vcc, 5, v12
	v_cmp_eq_u32_e64 s[0:1], 3, v12
	v_lshrrev_b32_e32 v6, 2, v6
	s_or_b64 vcc, s[0:1], vcc
	v_addc_co_u32_e32 v6, vcc, 0, v6, vcc
	v_cmp_gt_i32_e32 vcc, 31, v9
	s_nop 1
	v_cndmask_b32_e32 v6, v8, v6, vcc
	v_cmp_ne_u32_e32 vcc, 0, v0
	s_nop 1
	v_cndmask_b32_e64 v0, 0, 1, vcc
	v_lshl_or_b32 v0, v0, 9, v8
	v_cmp_eq_u32_e32 vcc, s14, v9
	s_nop 1
	v_cndmask_b32_e32 v0, v6, v0, vcc
	v_and_or_b32 v0, v1, s15, v0
	v_bitop3_b32 v1, v4, s18, v2 bitop3:0xc8
	v_lshrrev_b32_e32 v2, 16, v3
	v_mul_f16_sdwa v4, v87, v2 dst_sel:DWORD dst_unused:UNUSED_PAD src0_sel:WORD_1 src1_sel:DWORD
	v_fma_f16 v4, v87, v3, v4
	v_cvt_f32_f16_e32 v4, v4
	v_lshl_or_b32 v6, v0, 16, v1
	v_lshl_add_u64 v[0:1], v[10:11], 0, s[4:5]
	global_store_dword v[0:1], v6, off
	v_cvt_f64_f32_e32 v[10:11], v4
	v_mul_f64 v[10:11], v[10:11], s[10:11]
	v_and_or_b32 v4, v11, s17, v10
	v_cmp_ne_u32_e32 vcc, 0, v4
	v_lshrrev_b32_e32 v6, 8, v11
	v_bfe_u32 v9, v11, 20, 11
	v_cndmask_b32_e64 v4, 0, 1, vcc
	v_and_or_b32 v4, v6, s16, v4
	v_sub_u32_e32 v10, 0x3f1, v9
	v_or_b32_e32 v6, 0x1000, v4
	v_med3_i32 v10, v10, 0, 13
	v_lshrrev_b32_e32 v12, v10, v6
	v_lshlrev_b32_e32 v10, v10, v12
	v_cmp_ne_u32_e32 vcc, v10, v6
	v_add_u32_e32 v9, 0xfffffc10, v9
	v_lshl_or_b32 v10, v9, 12, v4
	v_cndmask_b32_e64 v6, 0, 1, vcc
	v_or_b32_e32 v6, v12, v6
	v_cmp_gt_i32_e32 vcc, 1, v9
	v_mul_f16_sdwa v3, v87, v3 dst_sel:DWORD dst_unused:UNUSED_PAD src0_sel:WORD_1 src1_sel:DWORD
	v_fma_f16 v2, v87, v2, -v3
	v_cndmask_b32_e32 v6, v10, v6, vcc
	v_and_b32_e32 v10, 7, v6
	v_cmp_lt_i32_e32 vcc, 5, v10
	v_cmp_eq_u32_e64 s[0:1], 3, v10
	v_cvt_f32_f16_e32 v2, v2
	v_lshrrev_b32_e32 v6, 2, v6
	s_or_b64 vcc, s[0:1], vcc
	v_addc_co_u32_e32 v6, vcc, 0, v6, vcc
	v_cmp_gt_i32_e32 vcc, 31, v9
	v_cvt_f64_f32_e32 v[2:3], v2
	v_mul_f64 v[2:3], v[2:3], s[10:11]
	v_cndmask_b32_e32 v6, v8, v6, vcc
	v_cmp_ne_u32_e32 vcc, 0, v4
	v_and_or_b32 v2, v3, s17, v2
	v_bfe_u32 v10, v3, 20, 11
	v_cndmask_b32_e64 v4, 0, 1, vcc
	v_lshl_or_b32 v4, v4, 9, v8
	v_cmp_eq_u32_e32 vcc, s14, v9
	v_lshrrev_b32_e32 v9, 8, v3
	v_lshrrev_b32_e32 v3, 16, v3
	v_cndmask_b32_e32 v4, v6, v4, vcc
	v_cmp_ne_u32_e32 vcc, 0, v2
	v_and_b32_sdwa v6, v11, s15 dst_sel:DWORD dst_unused:UNUSED_PAD src0_sel:WORD_1 src1_sel:DWORD
	v_sub_u32_e32 v11, 0x3f1, v10
	v_cndmask_b32_e64 v2, 0, 1, vcc
	v_and_or_b32 v2, v9, s16, v2
	v_or_b32_e32 v9, 0x1000, v2
	v_med3_i32 v11, v11, 0, 13
	v_lshrrev_b32_e32 v12, v11, v9
	v_lshlrev_b32_e32 v11, v11, v12
	v_cmp_ne_u32_e32 vcc, v11, v9
	v_add_u32_e32 v10, 0xfffffc10, v10
	v_lshl_or_b32 v11, v10, 12, v2
	v_cndmask_b32_e64 v9, 0, 1, vcc
	v_or_b32_e32 v9, v12, v9
	v_cmp_gt_i32_e32 vcc, 1, v10
	v_lshl_add_u64 v[0:1], v[0:1], 0, s[12:13]
	s_nop 0
	v_cndmask_b32_e32 v9, v11, v9, vcc
	v_and_b32_e32 v11, 7, v9
	v_cmp_lt_i32_e32 vcc, 5, v11
	v_cmp_eq_u32_e64 s[0:1], 3, v11
	v_lshrrev_b32_e32 v9, 2, v9
	s_or_b64 vcc, s[0:1], vcc
	v_addc_co_u32_e32 v9, vcc, 0, v9, vcc
	v_cmp_gt_i32_e32 vcc, 31, v10
	s_nop 1
	v_cndmask_b32_e32 v9, v8, v9, vcc
	v_cmp_ne_u32_e32 vcc, 0, v2
	s_nop 1
	v_cndmask_b32_e64 v2, 0, 1, vcc
	v_lshl_or_b32 v2, v2, 9, v8
	v_cmp_eq_u32_e32 vcc, s14, v10
	s_nop 1
	v_cndmask_b32_e32 v2, v9, v2, vcc
	v_and_or_b32 v2, v3, s15, v2
	v_bitop3_b32 v3, v6, s18, v4 bitop3:0xc8
	v_lshrrev_b32_e32 v4, 16, v5
	v_mul_f16_sdwa v6, v79, v4 dst_sel:DWORD dst_unused:UNUSED_PAD src0_sel:WORD_1 src1_sel:DWORD
	v_fma_f16 v6, v79, v5, v6
	v_cvt_f32_f16_e32 v6, v6
	v_lshl_or_b32 v2, v2, 16, v3
	global_store_dword v[0:1], v2, off
	v_mul_f16_sdwa v5, v79, v5 dst_sel:DWORD dst_unused:UNUSED_PAD src0_sel:WORD_1 src1_sel:DWORD
	v_cvt_f64_f32_e32 v[2:3], v6
	v_mul_f64 v[2:3], v[2:3], s[10:11]
	v_and_or_b32 v2, v3, s17, v2
	v_cmp_ne_u32_e32 vcc, 0, v2
	v_lshrrev_b32_e32 v6, 8, v3
	v_bfe_u32 v9, v3, 20, 11
	v_cndmask_b32_e64 v2, 0, 1, vcc
	v_and_or_b32 v2, v6, s16, v2
	v_sub_u32_e32 v10, 0x3f1, v9
	v_or_b32_e32 v6, 0x1000, v2
	v_med3_i32 v10, v10, 0, 13
	v_lshrrev_b32_e32 v11, v10, v6
	v_lshlrev_b32_e32 v10, v10, v11
	v_cmp_ne_u32_e32 vcc, v10, v6
	v_add_u32_e32 v9, 0xfffffc10, v9
	v_lshl_or_b32 v10, v9, 12, v2
	v_cndmask_b32_e64 v6, 0, 1, vcc
	v_or_b32_e32 v6, v11, v6
	v_cmp_gt_i32_e32 vcc, 1, v9
	v_fma_f16 v4, v79, v4, -v5
	v_cvt_f32_f16_e32 v4, v4
	v_cndmask_b32_e32 v6, v10, v6, vcc
	v_and_b32_e32 v10, 7, v6
	v_cmp_lt_i32_e32 vcc, 5, v10
	v_cmp_eq_u32_e64 s[0:1], 3, v10
	v_lshrrev_b32_e32 v6, 2, v6
	s_or_b64 vcc, s[0:1], vcc
	v_addc_co_u32_e32 v6, vcc, 0, v6, vcc
	v_cmp_gt_i32_e32 vcc, 31, v9
	v_lshl_add_u64 v[0:1], v[0:1], 0, s[12:13]
	s_nop 0
	v_cndmask_b32_e32 v6, v8, v6, vcc
	v_cmp_ne_u32_e32 vcc, 0, v2
	s_nop 1
	v_cndmask_b32_e64 v2, 0, 1, vcc
	v_lshl_or_b32 v2, v2, 9, v8
	v_cmp_eq_u32_e32 vcc, s14, v9
	s_nop 1
	v_cndmask_b32_e32 v5, v6, v2, vcc
	v_and_b32_sdwa v6, v3, s15 dst_sel:DWORD dst_unused:UNUSED_PAD src0_sel:WORD_1 src1_sel:DWORD
	v_cvt_f64_f32_e32 v[2:3], v4
	v_mul_f64 v[2:3], v[2:3], s[10:11]
	v_and_or_b32 v2, v3, s17, v2
	v_cmp_ne_u32_e32 vcc, 0, v2
	v_lshrrev_b32_e32 v4, 8, v3
	v_bfe_u32 v9, v3, 20, 11
	v_cndmask_b32_e64 v2, 0, 1, vcc
	v_and_or_b32 v2, v4, s16, v2
	v_sub_u32_e32 v10, 0x3f1, v9
	v_or_b32_e32 v4, 0x1000, v2
	v_med3_i32 v10, v10, 0, 13
	v_lshrrev_b32_e32 v11, v10, v4
	v_lshlrev_b32_e32 v10, v10, v11
	v_cmp_ne_u32_e32 vcc, v10, v4
	v_add_u32_e32 v9, 0xfffffc10, v9
	v_lshl_or_b32 v10, v9, 12, v2
	v_cndmask_b32_e64 v4, 0, 1, vcc
	v_or_b32_e32 v4, v11, v4
	v_cmp_gt_i32_e32 vcc, 1, v9
	v_lshrrev_b32_e32 v3, 16, v3
	s_nop 0
	v_cndmask_b32_e32 v4, v10, v4, vcc
	v_and_b32_e32 v10, 7, v4
	v_cmp_lt_i32_e32 vcc, 5, v10
	v_cmp_eq_u32_e64 s[0:1], 3, v10
	v_lshrrev_b32_e32 v4, 2, v4
	s_or_b64 vcc, s[0:1], vcc
	v_addc_co_u32_e32 v4, vcc, 0, v4, vcc
	v_cmp_gt_i32_e32 vcc, 31, v9
	s_nop 1
	v_cndmask_b32_e32 v4, v8, v4, vcc
	v_cmp_ne_u32_e32 vcc, 0, v2
	s_nop 1
	v_cndmask_b32_e64 v2, 0, 1, vcc
	v_lshl_or_b32 v2, v2, 9, v8
	v_cmp_eq_u32_e32 vcc, s14, v9
	s_nop 1
	v_cndmask_b32_e32 v2, v4, v2, vcc
	v_lshrrev_b32_e32 v4, 16, v7
	v_and_or_b32 v2, v3, s15, v2
	v_bitop3_b32 v3, v6, s18, v5 bitop3:0xc8
	v_mul_f16_sdwa v5, v75, v4 dst_sel:DWORD dst_unused:UNUSED_PAD src0_sel:WORD_1 src1_sel:DWORD
	v_fma_f16 v5, v75, v7, v5
	v_cvt_f32_f16_e32 v5, v5
	v_lshl_or_b32 v2, v2, 16, v3
	global_store_dword v[0:1], v2, off
	v_mul_f16_sdwa v7, v75, v7 dst_sel:DWORD dst_unused:UNUSED_PAD src0_sel:WORD_1 src1_sel:DWORD
	v_cvt_f64_f32_e32 v[2:3], v5
	v_mul_f64 v[2:3], v[2:3], s[10:11]
	v_and_or_b32 v2, v3, s17, v2
	v_cmp_ne_u32_e32 vcc, 0, v2
	v_lshrrev_b32_e32 v5, 8, v3
	v_bfe_u32 v6, v3, 20, 11
	v_cndmask_b32_e64 v2, 0, 1, vcc
	v_and_or_b32 v2, v5, s16, v2
	v_sub_u32_e32 v9, 0x3f1, v6
	v_or_b32_e32 v5, 0x1000, v2
	v_med3_i32 v9, v9, 0, 13
	v_lshrrev_b32_e32 v10, v9, v5
	v_lshlrev_b32_e32 v9, v9, v10
	v_cmp_ne_u32_e32 vcc, v9, v5
	v_add_u32_e32 v6, 0xfffffc10, v6
	v_lshl_or_b32 v9, v6, 12, v2
	v_cndmask_b32_e64 v5, 0, 1, vcc
	v_or_b32_e32 v5, v10, v5
	v_cmp_gt_i32_e32 vcc, 1, v6
	v_fma_f16 v4, v75, v4, -v7
	v_cvt_f32_f16_e32 v4, v4
	v_cndmask_b32_e32 v5, v9, v5, vcc
	v_and_b32_e32 v9, 7, v5
	v_cmp_lt_i32_e32 vcc, 5, v9
	v_cmp_eq_u32_e64 s[0:1], 3, v9
	v_lshrrev_b32_e32 v5, 2, v5
	s_or_b64 vcc, s[0:1], vcc
	v_addc_co_u32_e32 v5, vcc, 0, v5, vcc
	v_cmp_gt_i32_e32 vcc, 31, v6
	v_lshl_add_u64 v[0:1], v[0:1], 0, s[12:13]
	s_nop 0
	v_cndmask_b32_e32 v5, v8, v5, vcc
	v_cmp_ne_u32_e32 vcc, 0, v2
	s_nop 1
	v_cndmask_b32_e64 v2, 0, 1, vcc
	v_lshl_or_b32 v2, v2, 9, v8
	v_cmp_eq_u32_e32 vcc, s14, v6
	v_and_b32_sdwa v6, v3, s15 dst_sel:DWORD dst_unused:UNUSED_PAD src0_sel:WORD_1 src1_sel:DWORD
	s_nop 0
	v_cndmask_b32_e32 v5, v5, v2, vcc
	v_cvt_f64_f32_e32 v[2:3], v4
	v_mul_f64 v[2:3], v[2:3], s[10:11]
	v_and_or_b32 v2, v3, s17, v2
	v_cmp_ne_u32_e32 vcc, 0, v2
	v_lshrrev_b32_e32 v4, 8, v3
	v_bfe_u32 v7, v3, 20, 11
	v_cndmask_b32_e64 v2, 0, 1, vcc
	v_and_or_b32 v2, v4, s16, v2
	v_sub_u32_e32 v9, 0x3f1, v7
	v_or_b32_e32 v4, 0x1000, v2
	v_med3_i32 v9, v9, 0, 13
	v_lshrrev_b32_e32 v10, v9, v4
	v_lshlrev_b32_e32 v9, v9, v10
	v_cmp_ne_u32_e32 vcc, v9, v4
	v_add_u32_e32 v7, 0xfffffc10, v7
	v_lshl_or_b32 v9, v7, 12, v2
	v_cndmask_b32_e64 v4, 0, 1, vcc
	v_or_b32_e32 v4, v10, v4
	v_cmp_gt_i32_e32 vcc, 1, v7
	v_lshrrev_b32_e32 v3, 16, v3
	s_nop 0
	v_cndmask_b32_e32 v4, v9, v4, vcc
	v_and_b32_e32 v9, 7, v4
	v_cmp_lt_i32_e32 vcc, 5, v9
	v_cmp_eq_u32_e64 s[0:1], 3, v9
	v_lshrrev_b32_e32 v4, 2, v4
	s_or_b64 vcc, s[0:1], vcc
	v_addc_co_u32_e32 v4, vcc, 0, v4, vcc
	v_cmp_gt_i32_e32 vcc, 31, v7
	s_nop 1
	v_cndmask_b32_e32 v4, v8, v4, vcc
	v_cmp_ne_u32_e32 vcc, 0, v2
	s_nop 1
	v_cndmask_b32_e64 v2, 0, 1, vcc
	v_lshl_or_b32 v2, v2, 9, v8
	v_cmp_eq_u32_e32 vcc, s14, v7
	s_nop 1
	v_cndmask_b32_e32 v2, v4, v2, vcc
	v_and_or_b32 v2, v3, s15, v2
	v_bitop3_b32 v3, v6, s18, v5 bitop3:0xc8
	v_lshl_or_b32 v2, v2, 16, v3
	global_store_dword v[0:1], v2, off
	s_and_b64 exec, exec, s[6:7]
	s_cbranch_execz .LBB0_31
; %bb.30:
	v_add_co_u32_e32 v2, vcc, 0x2000, v80
	ds_read_b32 v9, v82 offset:21952
	s_nop 0
	v_addc_co_u32_e32 v3, vcc, 0, v81, vcc
	global_load_dword v2, v[2:3], off offset:2560
	ds_read_b32 v3, v82 offset:10752
	ds_read_b32 v10, v82 offset:44352
	s_movk_i32 s0, 0x5000
	v_lshl_add_u64 v[0:1], s[2:3], 2, v[0:1]
	s_waitcnt lgkmcnt(1)
	v_lshrrev_b32_e32 v4, 16, v3
	s_waitcnt vmcnt(0)
	v_mul_f16_sdwa v5, v4, v2 dst_sel:DWORD dst_unused:UNUSED_PAD src0_sel:DWORD src1_sel:WORD_1
	v_mul_f16_sdwa v6, v3, v2 dst_sel:DWORD dst_unused:UNUSED_PAD src0_sel:DWORD src1_sel:WORD_1
	v_fma_f16 v3, v3, v2, v5
	v_fma_f16 v2, v2, v4, -v6
	v_cvt_f32_f16_e32 v4, v3
	v_cvt_f32_f16_e32 v6, v2
	v_add_co_u32_e32 v2, vcc, s0, v80
	v_cvt_f64_f32_e32 v[4:5], v4
	v_cvt_f64_f32_e32 v[6:7], v6
	v_mul_f64 v[4:5], v[4:5], s[10:11]
	v_addc_co_u32_e32 v3, vcc, 0, v81, vcc
	v_mul_f64 v[6:7], v[6:7], s[10:11]
	v_and_or_b32 v4, v5, s17, v4
	v_and_or_b32 v6, v7, s17, v6
	v_cmp_ne_u32_e32 vcc, 0, v4
	v_lshrrev_b32_e32 v11, 8, v5
	v_bfe_u32 v12, v5, 20, 11
	v_cndmask_b32_e64 v4, 0, 1, vcc
	v_cmp_ne_u32_e32 vcc, 0, v6
	v_lshrrev_b32_e32 v13, 8, v7
	v_bfe_u32 v14, v7, 20, 11
	v_sub_u32_e32 v15, 0x3f1, v12
	v_cndmask_b32_e64 v6, 0, 1, vcc
	v_and_or_b32 v4, v11, s16, v4
	v_sub_u32_e32 v16, 0x3f1, v14
	v_med3_i32 v11, v15, 0, 13
	v_and_or_b32 v6, v13, s16, v6
	v_or_b32_e32 v15, 0x1000, v4
	v_add_u32_e32 v12, 0xfffffc10, v12
	v_med3_i32 v13, v16, 0, 13
	v_cmp_ne_u32_e32 vcc, 0, v4
	v_or_b32_e32 v17, 0x1000, v6
	v_lshrrev_b32_e32 v19, v11, v15
	v_add_u32_e32 v14, 0xfffffc10, v14
	v_lshl_or_b32 v16, v12, 12, v4
	v_cndmask_b32_e64 v4, 0, 1, vcc
	v_cmp_ne_u32_e32 vcc, 0, v6
	v_lshrrev_b32_e32 v20, v13, v17
	v_lshlrev_b32_e32 v11, v11, v19
	v_lshl_or_b32 v18, v14, 12, v6
	v_cndmask_b32_e64 v6, 0, 1, vcc
	v_lshlrev_b32_e32 v13, v13, v20
	v_cmp_ne_u32_e32 vcc, v11, v15
	v_lshl_or_b32 v4, v4, 9, v8
	v_lshl_or_b32 v6, v6, 9, v8
	v_cndmask_b32_e64 v11, 0, 1, vcc
	v_cmp_ne_u32_e32 vcc, v13, v17
	v_or_b32_e32 v11, v19, v11
	v_and_b32_sdwa v5, v5, s15 dst_sel:DWORD dst_unused:UNUSED_PAD src0_sel:WORD_1 src1_sel:DWORD
	v_cndmask_b32_e64 v13, 0, 1, vcc
	v_cmp_gt_i32_e32 vcc, 1, v12
	v_or_b32_e32 v13, v20, v13
	v_lshrrev_b32_e32 v7, 16, v7
	v_cndmask_b32_e32 v11, v16, v11, vcc
	v_cmp_gt_i32_e32 vcc, 1, v14
	v_and_b32_e32 v15, 7, v11
	v_cmp_eq_u32_e64 s[0:1], 3, v15
	v_cndmask_b32_e32 v13, v18, v13, vcc
	v_cmp_lt_i32_e32 vcc, 5, v15
	v_lshrrev_b32_e32 v11, 2, v11
	v_and_b32_e32 v16, 7, v13
	s_or_b64 vcc, s[0:1], vcc
	v_cmp_lt_i32_e64 s[2:3], 5, v16
	v_cmp_eq_u32_e64 s[4:5], 3, v16
	v_addc_co_u32_e32 v11, vcc, 0, v11, vcc
	v_lshrrev_b32_e32 v13, 2, v13
	s_or_b64 vcc, s[4:5], s[2:3]
	v_addc_co_u32_e32 v13, vcc, 0, v13, vcc
	v_cmp_gt_i32_e32 vcc, 31, v12
	s_nop 1
	v_cndmask_b32_e32 v11, v8, v11, vcc
	v_cmp_gt_i32_e32 vcc, 31, v14
	s_nop 1
	v_cndmask_b32_e32 v13, v8, v13, vcc
	v_cmp_eq_u32_e32 vcc, s14, v12
	s_nop 1
	v_cndmask_b32_e32 v4, v11, v4, vcc
	v_cmp_eq_u32_e32 vcc, s14, v14
	v_bitop3_b32 v4, v5, s18, v4 bitop3:0xc8
	s_nop 0
	v_cndmask_b32_e32 v6, v13, v6, vcc
	v_and_or_b32 v6, v7, s15, v6
	v_lshl_or_b32 v4, v6, 16, v4
	global_store_dword v[0:1], v4, off
	global_load_dword v2, v[2:3], off offset:1472
	v_lshrrev_b32_e32 v3, 16, v9
	v_lshl_add_u64 v[0:1], v[0:1], 0, s[12:13]
	s_waitcnt vmcnt(0)
	v_mul_f16_sdwa v4, v3, v2 dst_sel:DWORD dst_unused:UNUSED_PAD src0_sel:DWORD src1_sel:WORD_1
	v_mul_f16_sdwa v5, v9, v2 dst_sel:DWORD dst_unused:UNUSED_PAD src0_sel:DWORD src1_sel:WORD_1
	v_fma_f16 v4, v9, v2, v4
	v_fma_f16 v2, v2, v3, -v5
	v_cvt_f32_f16_e32 v4, v4
	v_cvt_f32_f16_e32 v6, v2
	v_add_co_u32_e32 v2, vcc, s15, v80
	v_cvt_f64_f32_e32 v[4:5], v4
	v_cvt_f64_f32_e32 v[6:7], v6
	v_mul_f64 v[4:5], v[4:5], s[10:11]
	v_addc_co_u32_e32 v3, vcc, 0, v81, vcc
	v_mul_f64 v[6:7], v[6:7], s[10:11]
	v_and_or_b32 v4, v5, s17, v4
	v_and_or_b32 v6, v7, s17, v6
	v_cmp_ne_u32_e32 vcc, 0, v4
	v_lshrrev_b32_e32 v9, 8, v5
	v_bfe_u32 v11, v5, 20, 11
	v_cndmask_b32_e64 v4, 0, 1, vcc
	v_cmp_ne_u32_e32 vcc, 0, v6
	v_lshrrev_b32_e32 v12, 8, v7
	v_bfe_u32 v13, v7, 20, 11
	v_sub_u32_e32 v14, 0x3f1, v11
	v_cndmask_b32_e64 v6, 0, 1, vcc
	v_and_or_b32 v4, v9, s16, v4
	v_sub_u32_e32 v15, 0x3f1, v13
	v_med3_i32 v9, v14, 0, 13
	v_and_or_b32 v6, v12, s16, v6
	v_or_b32_e32 v14, 0x1000, v4
	v_add_u32_e32 v11, 0xfffffc10, v11
	v_med3_i32 v12, v15, 0, 13
	v_cmp_ne_u32_e32 vcc, 0, v4
	v_or_b32_e32 v16, 0x1000, v6
	v_lshrrev_b32_e32 v18, v9, v14
	v_add_u32_e32 v13, 0xfffffc10, v13
	v_lshl_or_b32 v15, v11, 12, v4
	v_cndmask_b32_e64 v4, 0, 1, vcc
	v_cmp_ne_u32_e32 vcc, 0, v6
	v_lshrrev_b32_e32 v19, v12, v16
	v_lshlrev_b32_e32 v9, v9, v18
	v_lshl_or_b32 v17, v13, 12, v6
	v_cndmask_b32_e64 v6, 0, 1, vcc
	v_lshlrev_b32_e32 v12, v12, v19
	v_cmp_ne_u32_e32 vcc, v9, v14
	v_lshl_or_b32 v4, v4, 9, v8
	v_lshl_or_b32 v6, v6, 9, v8
	v_cndmask_b32_e64 v9, 0, 1, vcc
	v_cmp_ne_u32_e32 vcc, v12, v16
	v_or_b32_e32 v9, v18, v9
	v_and_b32_sdwa v5, v5, s15 dst_sel:DWORD dst_unused:UNUSED_PAD src0_sel:WORD_1 src1_sel:DWORD
	v_cndmask_b32_e64 v12, 0, 1, vcc
	v_cmp_gt_i32_e32 vcc, 1, v11
	v_or_b32_e32 v12, v19, v12
	v_lshrrev_b32_e32 v7, 16, v7
	v_cndmask_b32_e32 v9, v15, v9, vcc
	v_cmp_gt_i32_e32 vcc, 1, v13
	v_and_b32_e32 v14, 7, v9
	v_cmp_eq_u32_e64 s[0:1], 3, v14
	v_cndmask_b32_e32 v12, v17, v12, vcc
	v_cmp_lt_i32_e32 vcc, 5, v14
	v_lshrrev_b32_e32 v9, 2, v9
	v_and_b32_e32 v15, 7, v12
	s_or_b64 vcc, s[0:1], vcc
	v_cmp_lt_i32_e64 s[2:3], 5, v15
	v_cmp_eq_u32_e64 s[4:5], 3, v15
	v_addc_co_u32_e32 v9, vcc, 0, v9, vcc
	v_lshrrev_b32_e32 v12, 2, v12
	s_or_b64 vcc, s[4:5], s[2:3]
	v_addc_co_u32_e32 v12, vcc, 0, v12, vcc
	v_cmp_gt_i32_e32 vcc, 31, v11
	s_mov_b32 s0, 0xa000
	s_nop 0
	v_cndmask_b32_e32 v9, v8, v9, vcc
	v_cmp_gt_i32_e32 vcc, 31, v13
	s_nop 1
	v_cndmask_b32_e32 v12, v8, v12, vcc
	v_cmp_eq_u32_e32 vcc, s14, v11
	s_nop 1
	v_cndmask_b32_e32 v4, v9, v4, vcc
	v_cmp_eq_u32_e32 vcc, s14, v13
	v_bitop3_b32 v4, v5, s18, v4 bitop3:0xc8
	s_nop 0
	v_cndmask_b32_e32 v6, v12, v6, vcc
	v_and_or_b32 v6, v7, s15, v6
	v_lshl_or_b32 v4, v6, 16, v4
	global_store_dword v[0:1], v4, off
	global_load_dword v2, v[2:3], off offset:384
	ds_read_b32 v3, v82 offset:33152
	v_lshl_add_u64 v[0:1], v[0:1], 0, s[12:13]
	s_waitcnt lgkmcnt(0)
	v_lshrrev_b32_e32 v4, 16, v3
	s_waitcnt vmcnt(0)
	v_mul_f16_sdwa v5, v4, v2 dst_sel:DWORD dst_unused:UNUSED_PAD src0_sel:DWORD src1_sel:WORD_1
	v_mul_f16_sdwa v6, v3, v2 dst_sel:DWORD dst_unused:UNUSED_PAD src0_sel:DWORD src1_sel:WORD_1
	v_fma_f16 v3, v3, v2, v5
	v_fma_f16 v2, v2, v4, -v6
	v_cvt_f32_f16_e32 v4, v3
	v_cvt_f32_f16_e32 v6, v2
	v_add_co_u32_e32 v2, vcc, s0, v80
	v_cvt_f64_f32_e32 v[4:5], v4
	v_cvt_f64_f32_e32 v[6:7], v6
	v_mul_f64 v[4:5], v[4:5], s[10:11]
	v_addc_co_u32_e32 v3, vcc, 0, v81, vcc
	v_mul_f64 v[6:7], v[6:7], s[10:11]
	v_and_or_b32 v4, v5, s17, v4
	v_and_or_b32 v6, v7, s17, v6
	v_cmp_ne_u32_e32 vcc, 0, v4
	v_lshrrev_b32_e32 v9, 8, v5
	v_bfe_u32 v11, v5, 20, 11
	v_cndmask_b32_e64 v4, 0, 1, vcc
	v_cmp_ne_u32_e32 vcc, 0, v6
	v_lshrrev_b32_e32 v12, 8, v7
	v_bfe_u32 v13, v7, 20, 11
	v_sub_u32_e32 v14, 0x3f1, v11
	v_cndmask_b32_e64 v6, 0, 1, vcc
	v_and_or_b32 v4, v9, s16, v4
	v_sub_u32_e32 v15, 0x3f1, v13
	v_med3_i32 v9, v14, 0, 13
	v_and_or_b32 v6, v12, s16, v6
	v_or_b32_e32 v14, 0x1000, v4
	v_add_u32_e32 v11, 0xfffffc10, v11
	v_med3_i32 v12, v15, 0, 13
	v_cmp_ne_u32_e32 vcc, 0, v4
	v_or_b32_e32 v16, 0x1000, v6
	v_lshrrev_b32_e32 v18, v9, v14
	v_add_u32_e32 v13, 0xfffffc10, v13
	v_lshl_or_b32 v15, v11, 12, v4
	v_cndmask_b32_e64 v4, 0, 1, vcc
	v_cmp_ne_u32_e32 vcc, 0, v6
	v_lshrrev_b32_e32 v19, v12, v16
	v_lshlrev_b32_e32 v9, v9, v18
	v_lshl_or_b32 v17, v13, 12, v6
	v_cndmask_b32_e64 v6, 0, 1, vcc
	v_lshlrev_b32_e32 v12, v12, v19
	v_cmp_ne_u32_e32 vcc, v9, v14
	v_lshl_or_b32 v4, v4, 9, v8
	v_lshl_or_b32 v6, v6, 9, v8
	v_cndmask_b32_e64 v9, 0, 1, vcc
	v_cmp_ne_u32_e32 vcc, v12, v16
	v_or_b32_e32 v9, v18, v9
	v_and_b32_sdwa v5, v5, s15 dst_sel:DWORD dst_unused:UNUSED_PAD src0_sel:WORD_1 src1_sel:DWORD
	v_cndmask_b32_e64 v12, 0, 1, vcc
	v_cmp_gt_i32_e32 vcc, 1, v11
	v_or_b32_e32 v12, v19, v12
	v_lshrrev_b32_e32 v7, 16, v7
	v_cndmask_b32_e32 v9, v15, v9, vcc
	v_cmp_gt_i32_e32 vcc, 1, v13
	v_and_b32_e32 v14, 7, v9
	v_cmp_eq_u32_e64 s[0:1], 3, v14
	v_cndmask_b32_e32 v12, v17, v12, vcc
	v_cmp_lt_i32_e32 vcc, 5, v14
	v_lshrrev_b32_e32 v9, 2, v9
	v_and_b32_e32 v15, 7, v12
	s_or_b64 vcc, s[0:1], vcc
	v_cmp_lt_i32_e64 s[2:3], 5, v15
	v_cmp_eq_u32_e64 s[4:5], 3, v15
	v_addc_co_u32_e32 v9, vcc, 0, v9, vcc
	v_lshrrev_b32_e32 v12, 2, v12
	s_or_b64 vcc, s[4:5], s[2:3]
	v_addc_co_u32_e32 v12, vcc, 0, v12, vcc
	v_cmp_gt_i32_e32 vcc, 31, v11
	s_nop 1
	v_cndmask_b32_e32 v9, v8, v9, vcc
	v_cmp_gt_i32_e32 vcc, 31, v13
	s_nop 1
	v_cndmask_b32_e32 v12, v8, v12, vcc
	v_cmp_eq_u32_e32 vcc, s14, v11
	s_nop 1
	v_cndmask_b32_e32 v4, v9, v4, vcc
	v_cmp_eq_u32_e32 vcc, s14, v13
	v_bitop3_b32 v4, v5, s18, v4 bitop3:0xc8
	s_nop 0
	v_cndmask_b32_e32 v6, v12, v6, vcc
	v_and_or_b32 v6, v7, s15, v6
	v_lshl_or_b32 v4, v6, 16, v4
	global_store_dword v[0:1], v4, off
	global_load_dword v2, v[2:3], off offset:3392
	v_lshrrev_b32_e32 v3, 16, v10
	v_lshl_add_u64 v[0:1], v[0:1], 0, s[12:13]
	s_waitcnt vmcnt(0)
	v_mul_f16_sdwa v4, v3, v2 dst_sel:DWORD dst_unused:UNUSED_PAD src0_sel:DWORD src1_sel:WORD_1
	v_mul_f16_sdwa v5, v10, v2 dst_sel:DWORD dst_unused:UNUSED_PAD src0_sel:DWORD src1_sel:WORD_1
	v_fma_f16 v4, v10, v2, v4
	v_fma_f16 v2, v2, v3, -v5
	v_cvt_f32_f16_e32 v3, v4
	v_cvt_f32_f16_e32 v4, v2
	v_cvt_f64_f32_e32 v[2:3], v3
	v_cvt_f64_f32_e32 v[4:5], v4
	v_mul_f64 v[2:3], v[2:3], s[10:11]
	v_mul_f64 v[4:5], v[4:5], s[10:11]
	v_and_or_b32 v2, v3, s17, v2
	v_and_or_b32 v4, v5, s17, v4
	v_cmp_ne_u32_e32 vcc, 0, v2
	v_lshrrev_b32_e32 v6, 8, v3
	v_bfe_u32 v7, v3, 20, 11
	v_cndmask_b32_e64 v2, 0, 1, vcc
	v_cmp_ne_u32_e32 vcc, 0, v4
	v_lshrrev_b32_e32 v9, 8, v5
	v_bfe_u32 v10, v5, 20, 11
	v_sub_u32_e32 v11, 0x3f1, v7
	v_cndmask_b32_e64 v4, 0, 1, vcc
	v_and_or_b32 v2, v6, s16, v2
	v_sub_u32_e32 v12, 0x3f1, v10
	v_med3_i32 v6, v11, 0, 13
	v_and_or_b32 v4, v9, s16, v4
	v_or_b32_e32 v11, 0x1000, v2
	v_add_u32_e32 v7, 0xfffffc10, v7
	v_med3_i32 v9, v12, 0, 13
	v_cmp_ne_u32_e32 vcc, 0, v2
	v_or_b32_e32 v13, 0x1000, v4
	v_lshrrev_b32_e32 v15, v6, v11
	v_add_u32_e32 v10, 0xfffffc10, v10
	v_lshl_or_b32 v12, v7, 12, v2
	v_cndmask_b32_e64 v2, 0, 1, vcc
	v_cmp_ne_u32_e32 vcc, 0, v4
	v_lshrrev_b32_e32 v16, v9, v13
	v_lshlrev_b32_e32 v6, v6, v15
	v_lshl_or_b32 v14, v10, 12, v4
	v_cndmask_b32_e64 v4, 0, 1, vcc
	v_lshlrev_b32_e32 v9, v9, v16
	v_cmp_ne_u32_e32 vcc, v6, v11
	v_lshl_or_b32 v2, v2, 9, v8
	v_lshl_or_b32 v4, v4, 9, v8
	v_cndmask_b32_e64 v6, 0, 1, vcc
	v_cmp_ne_u32_e32 vcc, v9, v13
	v_or_b32_e32 v6, v15, v6
	v_and_b32_sdwa v3, v3, s15 dst_sel:DWORD dst_unused:UNUSED_PAD src0_sel:WORD_1 src1_sel:DWORD
	v_cndmask_b32_e64 v9, 0, 1, vcc
	v_cmp_gt_i32_e32 vcc, 1, v7
	v_or_b32_e32 v9, v16, v9
	v_lshrrev_b32_e32 v5, 16, v5
	v_cndmask_b32_e32 v6, v12, v6, vcc
	v_cmp_gt_i32_e32 vcc, 1, v10
	v_and_b32_e32 v11, 7, v6
	v_cmp_eq_u32_e64 s[0:1], 3, v11
	v_cndmask_b32_e32 v9, v14, v9, vcc
	v_cmp_lt_i32_e32 vcc, 5, v11
	v_lshrrev_b32_e32 v6, 2, v6
	v_and_b32_e32 v12, 7, v9
	s_or_b64 vcc, s[0:1], vcc
	v_cmp_lt_i32_e64 s[2:3], 5, v12
	v_cmp_eq_u32_e64 s[4:5], 3, v12
	v_addc_co_u32_e32 v6, vcc, 0, v6, vcc
	v_lshrrev_b32_e32 v9, 2, v9
	s_or_b64 vcc, s[4:5], s[2:3]
	v_addc_co_u32_e32 v9, vcc, 0, v9, vcc
	v_cmp_gt_i32_e32 vcc, 31, v7
	s_nop 1
	v_cndmask_b32_e32 v6, v8, v6, vcc
	v_cmp_gt_i32_e32 vcc, 31, v10
	s_nop 1
	v_cndmask_b32_e32 v8, v8, v9, vcc
	v_cmp_eq_u32_e32 vcc, s14, v7
	s_nop 1
	v_cndmask_b32_e32 v2, v6, v2, vcc
	v_cmp_eq_u32_e32 vcc, s14, v10
	v_bitop3_b32 v2, v3, s18, v2 bitop3:0xc8
	s_nop 0
	v_cndmask_b32_e32 v4, v8, v4, vcc
	v_and_or_b32 v4, v5, s15, v4
	v_lshl_or_b32 v2, v4, 16, v2
	global_store_dword v[0:1], v2, off
.LBB0_31:
	s_endpgm
	.section	.rodata,"a",@progbits
	.p2align	6, 0x0
	.amdhsa_kernel bluestein_single_back_len11200_dim1_half_op_CI_CI
		.amdhsa_group_segment_fixed_size 44800
		.amdhsa_private_segment_fixed_size 0
		.amdhsa_kernarg_size 104
		.amdhsa_user_sgpr_count 2
		.amdhsa_user_sgpr_dispatch_ptr 0
		.amdhsa_user_sgpr_queue_ptr 0
		.amdhsa_user_sgpr_kernarg_segment_ptr 1
		.amdhsa_user_sgpr_dispatch_id 0
		.amdhsa_user_sgpr_kernarg_preload_length 0
		.amdhsa_user_sgpr_kernarg_preload_offset 0
		.amdhsa_user_sgpr_private_segment_size 0
		.amdhsa_uses_dynamic_stack 0
		.amdhsa_enable_private_segment 0
		.amdhsa_system_sgpr_workgroup_id_x 1
		.amdhsa_system_sgpr_workgroup_id_y 0
		.amdhsa_system_sgpr_workgroup_id_z 0
		.amdhsa_system_sgpr_workgroup_info 0
		.amdhsa_system_vgpr_workitem_id 0
		.amdhsa_next_free_vgpr 199
		.amdhsa_next_free_sgpr 22
		.amdhsa_accum_offset 200
		.amdhsa_reserve_vcc 1
		.amdhsa_float_round_mode_32 0
		.amdhsa_float_round_mode_16_64 0
		.amdhsa_float_denorm_mode_32 3
		.amdhsa_float_denorm_mode_16_64 3
		.amdhsa_dx10_clamp 1
		.amdhsa_ieee_mode 1
		.amdhsa_fp16_overflow 0
		.amdhsa_tg_split 0
		.amdhsa_exception_fp_ieee_invalid_op 0
		.amdhsa_exception_fp_denorm_src 0
		.amdhsa_exception_fp_ieee_div_zero 0
		.amdhsa_exception_fp_ieee_overflow 0
		.amdhsa_exception_fp_ieee_underflow 0
		.amdhsa_exception_fp_ieee_inexact 0
		.amdhsa_exception_int_div_zero 0
	.end_amdhsa_kernel
	.text
.Lfunc_end0:
	.size	bluestein_single_back_len11200_dim1_half_op_CI_CI, .Lfunc_end0-bluestein_single_back_len11200_dim1_half_op_CI_CI
                                        ; -- End function
	.section	.AMDGPU.csdata,"",@progbits
; Kernel info:
; codeLenInByte = 48496
; NumSgprs: 28
; NumVgprs: 199
; NumAgprs: 0
; TotalNumVgprs: 199
; ScratchSize: 0
; MemoryBound: 0
; FloatMode: 240
; IeeeMode: 1
; LDSByteSize: 44800 bytes/workgroup (compile time only)
; SGPRBlocks: 3
; VGPRBlocks: 24
; NumSGPRsForWavesPerEU: 28
; NumVGPRsForWavesPerEU: 199
; AccumOffset: 200
; Occupancy: 2
; WaveLimiterHint : 1
; COMPUTE_PGM_RSRC2:SCRATCH_EN: 0
; COMPUTE_PGM_RSRC2:USER_SGPR: 2
; COMPUTE_PGM_RSRC2:TRAP_HANDLER: 0
; COMPUTE_PGM_RSRC2:TGID_X_EN: 1
; COMPUTE_PGM_RSRC2:TGID_Y_EN: 0
; COMPUTE_PGM_RSRC2:TGID_Z_EN: 0
; COMPUTE_PGM_RSRC2:TIDIG_COMP_CNT: 0
; COMPUTE_PGM_RSRC3_GFX90A:ACCUM_OFFSET: 49
; COMPUTE_PGM_RSRC3_GFX90A:TG_SPLIT: 0
	.text
	.p2alignl 6, 3212836864
	.fill 256, 4, 3212836864
	.type	__hip_cuid_d5875c6a8446dc38,@object ; @__hip_cuid_d5875c6a8446dc38
	.section	.bss,"aw",@nobits
	.globl	__hip_cuid_d5875c6a8446dc38
__hip_cuid_d5875c6a8446dc38:
	.byte	0                               ; 0x0
	.size	__hip_cuid_d5875c6a8446dc38, 1

	.ident	"AMD clang version 19.0.0git (https://github.com/RadeonOpenCompute/llvm-project roc-6.4.0 25133 c7fe45cf4b819c5991fe208aaa96edf142730f1d)"
	.section	".note.GNU-stack","",@progbits
	.addrsig
	.addrsig_sym __hip_cuid_d5875c6a8446dc38
	.amdgpu_metadata
---
amdhsa.kernels:
  - .agpr_count:     0
    .args:
      - .actual_access:  read_only
        .address_space:  global
        .offset:         0
        .size:           8
        .value_kind:     global_buffer
      - .actual_access:  read_only
        .address_space:  global
        .offset:         8
        .size:           8
        .value_kind:     global_buffer
      - .actual_access:  read_only
        .address_space:  global
        .offset:         16
        .size:           8
        .value_kind:     global_buffer
      - .actual_access:  read_only
        .address_space:  global
        .offset:         24
        .size:           8
        .value_kind:     global_buffer
      - .actual_access:  read_only
        .address_space:  global
        .offset:         32
        .size:           8
        .value_kind:     global_buffer
      - .offset:         40
        .size:           8
        .value_kind:     by_value
      - .address_space:  global
        .offset:         48
        .size:           8
        .value_kind:     global_buffer
      - .address_space:  global
        .offset:         56
        .size:           8
        .value_kind:     global_buffer
      - .address_space:  global
        .offset:         64
        .size:           8
        .value_kind:     global_buffer
      - .address_space:  global
        .offset:         72
        .size:           8
        .value_kind:     global_buffer
      - .offset:         80
        .size:           4
        .value_kind:     by_value
      - .address_space:  global
        .offset:         88
        .size:           8
        .value_kind:     global_buffer
      - .address_space:  global
        .offset:         96
        .size:           8
        .value_kind:     global_buffer
    .group_segment_fixed_size: 44800
    .kernarg_segment_align: 8
    .kernarg_segment_size: 104
    .language:       OpenCL C
    .language_version:
      - 2
      - 0
    .max_flat_workgroup_size: 448
    .name:           bluestein_single_back_len11200_dim1_half_op_CI_CI
    .private_segment_fixed_size: 0
    .sgpr_count:     28
    .sgpr_spill_count: 0
    .symbol:         bluestein_single_back_len11200_dim1_half_op_CI_CI.kd
    .uniform_work_group_size: 1
    .uses_dynamic_stack: false
    .vgpr_count:     199
    .vgpr_spill_count: 0
    .wavefront_size: 64
amdhsa.target:   amdgcn-amd-amdhsa--gfx950
amdhsa.version:
  - 1
  - 2
...

	.end_amdgpu_metadata
